;; amdgpu-corpus repo=ROCm/rocFFT kind=compiled arch=gfx1030 opt=O3
	.text
	.amdgcn_target "amdgcn-amd-amdhsa--gfx1030"
	.amdhsa_code_object_version 6
	.protected	fft_rtc_back_len1122_factors_17_11_6_wgs_204_tpt_102_halfLds_dp_op_CI_CI_unitstride_sbrr_C2R_dirReg ; -- Begin function fft_rtc_back_len1122_factors_17_11_6_wgs_204_tpt_102_halfLds_dp_op_CI_CI_unitstride_sbrr_C2R_dirReg
	.globl	fft_rtc_back_len1122_factors_17_11_6_wgs_204_tpt_102_halfLds_dp_op_CI_CI_unitstride_sbrr_C2R_dirReg
	.p2align	8
	.type	fft_rtc_back_len1122_factors_17_11_6_wgs_204_tpt_102_halfLds_dp_op_CI_CI_unitstride_sbrr_C2R_dirReg,@function
fft_rtc_back_len1122_factors_17_11_6_wgs_204_tpt_102_halfLds_dp_op_CI_CI_unitstride_sbrr_C2R_dirReg: ; @fft_rtc_back_len1122_factors_17_11_6_wgs_204_tpt_102_halfLds_dp_op_CI_CI_unitstride_sbrr_C2R_dirReg
; %bb.0:
	s_clause 0x2
	s_load_dwordx4 s[12:15], s[4:5], 0x0
	s_load_dwordx4 s[8:11], s[4:5], 0x58
	;; [unrolled: 1-line block ×3, first 2 shown]
	v_mul_u32_u24_e32 v1, 0x283, v0
	v_mov_b32_e32 v3, 0
	v_lshrrev_b32_e32 v7, 16, v1
	v_mov_b32_e32 v1, 0
	v_mov_b32_e32 v6, v3
	v_mov_b32_e32 v2, 0
	v_lshl_add_u32 v5, s6, 1, v7
	s_waitcnt lgkmcnt(0)
	v_cmp_lt_u64_e64 s0, s[14:15], 2
	s_and_b32 vcc_lo, exec_lo, s0
	s_cbranch_vccnz .LBB0_8
; %bb.1:
	s_load_dwordx2 s[0:1], s[4:5], 0x10
	v_mov_b32_e32 v1, 0
	v_mov_b32_e32 v2, 0
	s_add_u32 s2, s18, 8
	s_addc_u32 s3, s19, 0
	s_add_u32 s6, s16, 8
	s_addc_u32 s7, s17, 0
	v_mov_b32_e32 v89, v2
	v_mov_b32_e32 v88, v1
	s_mov_b64 s[22:23], 1
	s_waitcnt lgkmcnt(0)
	s_add_u32 s20, s0, 8
	s_addc_u32 s21, s1, 0
.LBB0_2:                                ; =>This Inner Loop Header: Depth=1
	s_load_dwordx2 s[24:25], s[20:21], 0x0
                                        ; implicit-def: $vgpr92_vgpr93
	s_mov_b32 s0, exec_lo
	s_waitcnt lgkmcnt(0)
	v_or_b32_e32 v4, s25, v6
	v_cmpx_ne_u64_e32 0, v[3:4]
	s_xor_b32 s1, exec_lo, s0
	s_cbranch_execz .LBB0_4
; %bb.3:                                ;   in Loop: Header=BB0_2 Depth=1
	v_cvt_f32_u32_e32 v4, s24
	v_cvt_f32_u32_e32 v8, s25
	s_sub_u32 s0, 0, s24
	s_subb_u32 s26, 0, s25
	v_fmac_f32_e32 v4, 0x4f800000, v8
	v_rcp_f32_e32 v4, v4
	v_mul_f32_e32 v4, 0x5f7ffffc, v4
	v_mul_f32_e32 v8, 0x2f800000, v4
	v_trunc_f32_e32 v8, v8
	v_fmac_f32_e32 v4, 0xcf800000, v8
	v_cvt_u32_f32_e32 v8, v8
	v_cvt_u32_f32_e32 v4, v4
	v_mul_lo_u32 v9, s0, v8
	v_mul_hi_u32 v10, s0, v4
	v_mul_lo_u32 v11, s26, v4
	v_add_nc_u32_e32 v9, v10, v9
	v_mul_lo_u32 v10, s0, v4
	v_add_nc_u32_e32 v9, v9, v11
	v_mul_hi_u32 v11, v4, v10
	v_mul_lo_u32 v12, v4, v9
	v_mul_hi_u32 v13, v4, v9
	v_mul_hi_u32 v14, v8, v10
	v_mul_lo_u32 v10, v8, v10
	v_mul_hi_u32 v15, v8, v9
	v_mul_lo_u32 v9, v8, v9
	v_add_co_u32 v11, vcc_lo, v11, v12
	v_add_co_ci_u32_e32 v12, vcc_lo, 0, v13, vcc_lo
	v_add_co_u32 v10, vcc_lo, v11, v10
	v_add_co_ci_u32_e32 v10, vcc_lo, v12, v14, vcc_lo
	v_add_co_ci_u32_e32 v11, vcc_lo, 0, v15, vcc_lo
	v_add_co_u32 v9, vcc_lo, v10, v9
	v_add_co_ci_u32_e32 v10, vcc_lo, 0, v11, vcc_lo
	v_add_co_u32 v4, vcc_lo, v4, v9
	v_add_co_ci_u32_e32 v8, vcc_lo, v8, v10, vcc_lo
	v_mul_hi_u32 v9, s0, v4
	v_mul_lo_u32 v11, s26, v4
	v_mul_lo_u32 v10, s0, v8
	v_add_nc_u32_e32 v9, v9, v10
	v_mul_lo_u32 v10, s0, v4
	v_add_nc_u32_e32 v9, v9, v11
	v_mul_hi_u32 v11, v4, v10
	v_mul_lo_u32 v12, v4, v9
	v_mul_hi_u32 v13, v4, v9
	v_mul_hi_u32 v14, v8, v10
	v_mul_lo_u32 v10, v8, v10
	v_mul_hi_u32 v15, v8, v9
	v_mul_lo_u32 v9, v8, v9
	v_add_co_u32 v11, vcc_lo, v11, v12
	v_add_co_ci_u32_e32 v12, vcc_lo, 0, v13, vcc_lo
	v_add_co_u32 v10, vcc_lo, v11, v10
	v_add_co_ci_u32_e32 v10, vcc_lo, v12, v14, vcc_lo
	v_add_co_ci_u32_e32 v11, vcc_lo, 0, v15, vcc_lo
	v_add_co_u32 v9, vcc_lo, v10, v9
	v_add_co_ci_u32_e32 v10, vcc_lo, 0, v11, vcc_lo
	v_add_co_u32 v4, vcc_lo, v4, v9
	v_add_co_ci_u32_e32 v12, vcc_lo, v8, v10, vcc_lo
	v_mul_hi_u32 v14, v5, v4
	v_mad_u64_u32 v[10:11], null, v6, v4, 0
	v_mad_u64_u32 v[8:9], null, v5, v12, 0
	v_mad_u64_u32 v[12:13], null, v6, v12, 0
	v_add_co_u32 v4, vcc_lo, v14, v8
	v_add_co_ci_u32_e32 v8, vcc_lo, 0, v9, vcc_lo
	v_add_co_u32 v4, vcc_lo, v4, v10
	v_add_co_ci_u32_e32 v4, vcc_lo, v8, v11, vcc_lo
	v_add_co_ci_u32_e32 v8, vcc_lo, 0, v13, vcc_lo
	v_add_co_u32 v4, vcc_lo, v4, v12
	v_add_co_ci_u32_e32 v10, vcc_lo, 0, v8, vcc_lo
	v_mul_lo_u32 v11, s25, v4
	v_mad_u64_u32 v[8:9], null, s24, v4, 0
	v_mul_lo_u32 v12, s24, v10
	v_sub_co_u32 v8, vcc_lo, v5, v8
	v_add3_u32 v9, v9, v12, v11
	v_sub_nc_u32_e32 v11, v6, v9
	v_subrev_co_ci_u32_e64 v11, s0, s25, v11, vcc_lo
	v_add_co_u32 v12, s0, v4, 2
	v_add_co_ci_u32_e64 v13, s0, 0, v10, s0
	v_sub_co_u32 v14, s0, v8, s24
	v_sub_co_ci_u32_e32 v9, vcc_lo, v6, v9, vcc_lo
	v_subrev_co_ci_u32_e64 v11, s0, 0, v11, s0
	v_cmp_le_u32_e32 vcc_lo, s24, v14
	v_cmp_eq_u32_e64 s0, s25, v9
	v_cndmask_b32_e64 v14, 0, -1, vcc_lo
	v_cmp_le_u32_e32 vcc_lo, s25, v11
	v_cndmask_b32_e64 v15, 0, -1, vcc_lo
	v_cmp_le_u32_e32 vcc_lo, s24, v8
	;; [unrolled: 2-line block ×3, first 2 shown]
	v_cndmask_b32_e64 v16, 0, -1, vcc_lo
	v_cmp_eq_u32_e32 vcc_lo, s25, v11
	v_cndmask_b32_e64 v8, v16, v8, s0
	v_cndmask_b32_e32 v11, v15, v14, vcc_lo
	v_add_co_u32 v14, vcc_lo, v4, 1
	v_add_co_ci_u32_e32 v15, vcc_lo, 0, v10, vcc_lo
	v_cmp_ne_u32_e32 vcc_lo, 0, v11
	v_cndmask_b32_e32 v9, v15, v13, vcc_lo
	v_cndmask_b32_e32 v11, v14, v12, vcc_lo
	v_cmp_ne_u32_e32 vcc_lo, 0, v8
	v_cndmask_b32_e32 v93, v10, v9, vcc_lo
	v_cndmask_b32_e32 v92, v4, v11, vcc_lo
.LBB0_4:                                ;   in Loop: Header=BB0_2 Depth=1
	s_andn2_saveexec_b32 s0, s1
	s_cbranch_execz .LBB0_6
; %bb.5:                                ;   in Loop: Header=BB0_2 Depth=1
	v_cvt_f32_u32_e32 v4, s24
	s_sub_i32 s1, 0, s24
	v_mov_b32_e32 v93, v3
	v_rcp_iflag_f32_e32 v4, v4
	v_mul_f32_e32 v4, 0x4f7ffffe, v4
	v_cvt_u32_f32_e32 v4, v4
	v_mul_lo_u32 v8, s1, v4
	v_mul_hi_u32 v8, v4, v8
	v_add_nc_u32_e32 v4, v4, v8
	v_mul_hi_u32 v4, v5, v4
	v_mul_lo_u32 v8, v4, s24
	v_add_nc_u32_e32 v9, 1, v4
	v_sub_nc_u32_e32 v8, v5, v8
	v_subrev_nc_u32_e32 v10, s24, v8
	v_cmp_le_u32_e32 vcc_lo, s24, v8
	v_cndmask_b32_e32 v8, v8, v10, vcc_lo
	v_cndmask_b32_e32 v4, v4, v9, vcc_lo
	v_cmp_le_u32_e32 vcc_lo, s24, v8
	v_add_nc_u32_e32 v9, 1, v4
	v_cndmask_b32_e32 v92, v4, v9, vcc_lo
.LBB0_6:                                ;   in Loop: Header=BB0_2 Depth=1
	s_or_b32 exec_lo, exec_lo, s0
	v_mul_lo_u32 v4, v93, s24
	v_mul_lo_u32 v10, v92, s25
	s_load_dwordx2 s[0:1], s[6:7], 0x0
	v_mad_u64_u32 v[8:9], null, v92, s24, 0
	s_load_dwordx2 s[24:25], s[2:3], 0x0
	s_add_u32 s22, s22, 1
	s_addc_u32 s23, s23, 0
	s_add_u32 s2, s2, 8
	s_addc_u32 s3, s3, 0
	s_add_u32 s6, s6, 8
	v_add3_u32 v4, v9, v10, v4
	v_sub_co_u32 v5, vcc_lo, v5, v8
	s_addc_u32 s7, s7, 0
	s_add_u32 s20, s20, 8
	v_sub_co_ci_u32_e32 v4, vcc_lo, v6, v4, vcc_lo
	s_addc_u32 s21, s21, 0
	s_waitcnt lgkmcnt(0)
	v_mul_lo_u32 v6, s0, v4
	v_mul_lo_u32 v8, s1, v5
	v_mad_u64_u32 v[1:2], null, s0, v5, v[1:2]
	v_mul_lo_u32 v4, s24, v4
	v_mul_lo_u32 v9, s25, v5
	v_mad_u64_u32 v[88:89], null, s24, v5, v[88:89]
	v_cmp_ge_u64_e64 s0, s[22:23], s[14:15]
	v_add3_u32 v2, v8, v2, v6
	v_add3_u32 v89, v9, v89, v4
	s_and_b32 vcc_lo, exec_lo, s0
	s_cbranch_vccnz .LBB0_9
; %bb.7:                                ;   in Loop: Header=BB0_2 Depth=1
	v_mov_b32_e32 v5, v92
	v_mov_b32_e32 v6, v93
	s_branch .LBB0_2
.LBB0_8:
	v_mov_b32_e32 v89, v2
	v_mov_b32_e32 v93, v6
	;; [unrolled: 1-line block ×4, first 2 shown]
.LBB0_9:
	s_load_dwordx2 s[0:1], s[4:5], 0x28
	v_and_b32_e32 v3, 1, v7
	v_mul_hi_u32 v4, 0x2828283, v0
	s_lshl_b64 s[4:5], s[14:15], 3
                                        ; implicit-def: $vgpr90
	s_add_u32 s2, s18, s4
	s_addc_u32 s3, s19, s5
	s_waitcnt lgkmcnt(0)
	v_cmp_gt_u64_e32 vcc_lo, s[0:1], v[92:93]
	v_cmp_le_u64_e64 s1, s[0:1], v[92:93]
	v_cmp_eq_u32_e64 s0, 1, v3
	s_and_saveexec_b32 s6, s1
	s_xor_b32 s1, exec_lo, s6
; %bb.10:
	v_mul_u32_u24_e32 v1, 0x66, v4
                                        ; implicit-def: $vgpr4
	v_sub_nc_u32_e32 v90, v0, v1
                                        ; implicit-def: $vgpr0
                                        ; implicit-def: $vgpr1_vgpr2
; %bb.11:
	s_or_saveexec_b32 s1, s1
	s_load_dwordx2 s[2:3], s[2:3], 0x0
	v_cndmask_b32_e64 v3, 0, 0x463, s0
	v_lshlrev_b32_e32 v191, 4, v3
	s_xor_b32 exec_lo, exec_lo, s1
	s_cbranch_execz .LBB0_15
; %bb.12:
	s_add_u32 s4, s16, s4
	s_addc_u32 s5, s17, s5
	v_lshlrev_b64 v[1:2], 4, v[1:2]
	s_load_dwordx2 s[4:5], s[4:5], 0x0
	s_waitcnt lgkmcnt(0)
	v_mul_lo_u32 v7, s5, v92
	v_mul_lo_u32 v8, s4, v93
	v_mad_u64_u32 v[5:6], null, s4, v92, 0
	s_mov_b32 s4, exec_lo
	v_add3_u32 v6, v6, v8, v7
	v_mul_u32_u24_e32 v7, 0x66, v4
	v_lshlrev_b64 v[4:5], 4, v[5:6]
	v_sub_nc_u32_e32 v90, v0, v7
	v_lshlrev_b32_e32 v48, 4, v90
	v_add_co_u32 v0, s0, s8, v4
	v_add_co_ci_u32_e64 v4, s0, s9, v5, s0
	v_add_co_u32 v0, s0, v0, v1
	v_add_co_ci_u32_e64 v1, s0, v4, v2, s0
	v_add3_u32 v2, 0, v191, v48
	v_add_co_u32 v12, s0, v0, v48
	v_add_co_ci_u32_e64 v13, s0, 0, v1, s0
	s_clause 0x1
	global_load_dwordx4 v[4:7], v[12:13], off
	global_load_dwordx4 v[8:11], v[12:13], off offset:1632
	v_add_co_u32 v14, s0, 0x800, v12
	v_add_co_ci_u32_e64 v15, s0, 0, v13, s0
	v_add_co_u32 v16, s0, 0x1000, v12
	v_add_co_ci_u32_e64 v17, s0, 0, v13, s0
	v_add_co_u32 v24, s0, 0x1800, v12
	v_add_co_ci_u32_e64 v25, s0, 0, v13, s0
	v_add_co_u32 v28, s0, 0x2000, v12
	v_add_co_ci_u32_e64 v29, s0, 0, v13, s0
	v_add_co_u32 v32, s0, 0x2800, v12
	v_add_co_ci_u32_e64 v33, s0, 0, v13, s0
	v_add_co_u32 v36, s0, 0x3000, v12
	v_add_co_ci_u32_e64 v37, s0, 0, v13, s0
	v_add_co_u32 v44, s0, 0x3800, v12
	v_add_co_ci_u32_e64 v45, s0, 0, v13, s0
	s_clause 0x8
	global_load_dwordx4 v[12:15], v[14:15], off offset:1216
	global_load_dwordx4 v[16:19], v[16:17], off offset:800
	;; [unrolled: 1-line block ×9, first 2 shown]
	s_waitcnt vmcnt(10)
	ds_write_b128 v2, v[4:7]
	s_waitcnt vmcnt(9)
	ds_write_b128 v2, v[8:11] offset:1632
	s_waitcnt vmcnt(8)
	ds_write_b128 v2, v[12:15] offset:3264
	;; [unrolled: 2-line block ×10, first 2 shown]
	v_cmpx_eq_u32_e32 0x65, v90
	s_cbranch_execz .LBB0_14
; %bb.13:
	v_add_co_u32 v0, s0, 0x4000, v0
	v_add_co_ci_u32_e64 v1, s0, 0, v1, s0
	v_mov_b32_e32 v90, 0x65
	global_load_dwordx4 v[4:7], v[0:1], off offset:1568
	s_waitcnt vmcnt(0)
	ds_write_b128 v2, v[4:7] offset:16336
.LBB0_14:
	s_or_b32 exec_lo, exec_lo, s4
.LBB0_15:
	s_or_b32 exec_lo, exec_lo, s1
	v_lshl_add_u32 v190, v3, 4, 0
	v_lshlrev_b32_e32 v6, 4, v90
	s_waitcnt lgkmcnt(0)
	s_barrier
	buffer_gl0_inv
	s_add_u32 s1, s12, 0x4510
	v_add_nc_u32_e32 v192, v190, v6
	v_sub_nc_u32_e32 v7, v190, v6
	s_addc_u32 s4, s13, 0
	s_mov_b32 s5, exec_lo
	ds_read_b64 v[2:3], v192
	ds_read_b64 v[4:5], v7 offset:17952
	s_waitcnt lgkmcnt(0)
	v_add_f64 v[0:1], v[2:3], v[4:5]
	v_add_f64 v[2:3], v[2:3], -v[4:5]
                                        ; implicit-def: $vgpr4_vgpr5
	v_cmpx_ne_u32_e32 0, v90
	s_xor_b32 s5, exec_lo, s5
	s_cbranch_execz .LBB0_17
; %bb.16:
	v_mov_b32_e32 v91, 0
	v_lshlrev_b64 v[4:5], 4, v[90:91]
	v_add_co_u32 v4, s0, s1, v4
	v_add_co_ci_u32_e64 v5, s0, s4, v5, s0
	global_load_dwordx4 v[8:11], v[4:5], off
	ds_read_b64 v[4:5], v7 offset:17960
	ds_read_b64 v[12:13], v192 offset:8
	s_waitcnt lgkmcnt(0)
	v_add_f64 v[14:15], v[4:5], v[12:13]
	v_add_f64 v[4:5], v[12:13], -v[4:5]
	s_waitcnt vmcnt(0)
	v_fma_f64 v[12:13], v[2:3], v[10:11], v[0:1]
	v_fma_f64 v[16:17], v[14:15], v[10:11], v[4:5]
	v_fma_f64 v[0:1], -v[2:3], v[10:11], v[0:1]
	v_fma_f64 v[4:5], v[14:15], v[10:11], -v[4:5]
	v_fma_f64 v[10:11], -v[14:15], v[8:9], v[12:13]
	v_fma_f64 v[12:13], v[2:3], v[8:9], v[16:17]
	v_fma_f64 v[0:1], v[14:15], v[8:9], v[0:1]
	;; [unrolled: 1-line block ×3, first 2 shown]
	v_mov_b32_e32 v4, v90
	v_mov_b32_e32 v5, v91
	ds_write_b128 v192, v[10:13]
	ds_write_b128 v7, v[0:3] offset:17952
                                        ; implicit-def: $vgpr0_vgpr1
.LBB0_17:
	s_andn2_saveexec_b32 s0, s5
	s_cbranch_execz .LBB0_19
; %bb.18:
	ds_write_b128 v192, v[0:3]
	ds_read_b128 v[0:3], v190 offset:8976
	v_mov_b32_e32 v4, 0
	v_mov_b32_e32 v5, 0
	s_waitcnt lgkmcnt(0)
	v_add_f64 v[0:1], v[0:1], v[0:1]
	v_mul_f64 v[2:3], v[2:3], -2.0
	ds_write_b128 v190, v[0:3] offset:8976
.LBB0_19:
	s_or_b32 exec_lo, exec_lo, s0
	v_lshlrev_b64 v[0:1], 4, v[4:5]
	v_add_co_u32 v0, s0, s1, v0
	v_add_co_ci_u32_e64 v1, s0, s4, v1, s0
	s_mov_b32 s1, exec_lo
	v_add_co_u32 v8, s0, 0x800, v0
	global_load_dwordx4 v[2:5], v[0:1], off offset:1632
	v_add_co_ci_u32_e64 v9, s0, 0, v1, s0
	v_add_co_u32 v12, s0, 0x1000, v0
	v_add_co_ci_u32_e64 v13, s0, 0, v1, s0
	global_load_dwordx4 v[8:11], v[8:9], off offset:1216
	v_add_co_u32 v0, s0, 0x1800, v0
	global_load_dwordx4 v[12:15], v[12:13], off offset:800
	v_add_co_ci_u32_e64 v1, s0, 0, v1, s0
	ds_read_b128 v[16:19], v192 offset:1632
	ds_read_b128 v[20:23], v7 offset:16320
	global_load_dwordx4 v[24:27], v[0:1], off offset:384
	s_waitcnt lgkmcnt(0)
	v_add_f64 v[28:29], v[16:17], v[20:21]
	v_add_f64 v[30:31], v[22:23], v[18:19]
	v_add_f64 v[32:33], v[16:17], -v[20:21]
	v_add_f64 v[16:17], v[18:19], -v[22:23]
	s_waitcnt vmcnt(3)
	v_fma_f64 v[18:19], v[32:33], v[4:5], v[28:29]
	v_fma_f64 v[20:21], v[30:31], v[4:5], v[16:17]
	v_fma_f64 v[22:23], -v[32:33], v[4:5], v[28:29]
	v_fma_f64 v[4:5], v[30:31], v[4:5], -v[16:17]
	v_fma_f64 v[16:17], -v[30:31], v[2:3], v[18:19]
	v_fma_f64 v[18:19], v[32:33], v[2:3], v[20:21]
	v_fma_f64 v[20:21], v[30:31], v[2:3], v[22:23]
	v_fma_f64 v[22:23], v[32:33], v[2:3], v[4:5]
	ds_write_b128 v192, v[16:19] offset:1632
	ds_write_b128 v7, v[20:23] offset:16320
	ds_read_b128 v[2:5], v192 offset:3264
	ds_read_b128 v[16:19], v7 offset:14688
	s_waitcnt lgkmcnt(0)
	v_add_f64 v[20:21], v[2:3], v[16:17]
	v_add_f64 v[22:23], v[18:19], v[4:5]
	v_add_f64 v[28:29], v[2:3], -v[16:17]
	v_add_f64 v[2:3], v[4:5], -v[18:19]
	s_waitcnt vmcnt(2)
	v_fma_f64 v[4:5], v[28:29], v[10:11], v[20:21]
	v_fma_f64 v[16:17], v[22:23], v[10:11], v[2:3]
	v_fma_f64 v[18:19], -v[28:29], v[10:11], v[20:21]
	v_fma_f64 v[10:11], v[22:23], v[10:11], -v[2:3]
	v_fma_f64 v[2:3], -v[22:23], v[8:9], v[4:5]
	v_fma_f64 v[4:5], v[28:29], v[8:9], v[16:17]
	v_fma_f64 v[16:17], v[22:23], v[8:9], v[18:19]
	v_fma_f64 v[18:19], v[28:29], v[8:9], v[10:11]
	ds_write_b128 v192, v[2:5] offset:3264
	ds_write_b128 v7, v[16:19] offset:14688
	ds_read_b128 v[2:5], v192 offset:4896
	ds_read_b128 v[8:11], v7 offset:13056
	;; [unrolled: 18-line block ×3, first 2 shown]
	s_waitcnt lgkmcnt(0)
	v_add_f64 v[12:13], v[2:3], v[8:9]
	v_add_f64 v[14:15], v[10:11], v[4:5]
	v_add_f64 v[16:17], v[2:3], -v[8:9]
	v_add_f64 v[2:3], v[4:5], -v[10:11]
	s_waitcnt vmcnt(0)
	v_fma_f64 v[4:5], v[16:17], v[26:27], v[12:13]
	v_fma_f64 v[8:9], v[14:15], v[26:27], v[2:3]
	v_fma_f64 v[10:11], -v[16:17], v[26:27], v[12:13]
	v_fma_f64 v[12:13], v[14:15], v[26:27], -v[2:3]
	v_fma_f64 v[2:3], -v[14:15], v[24:25], v[4:5]
	v_fma_f64 v[4:5], v[16:17], v[24:25], v[8:9]
	v_fma_f64 v[8:9], v[14:15], v[24:25], v[10:11]
	;; [unrolled: 1-line block ×3, first 2 shown]
	ds_write_b128 v192, v[2:5] offset:6528
	ds_write_b128 v7, v[8:11] offset:11424
	v_cmpx_gt_u32_e32 51, v90
	s_cbranch_execz .LBB0_21
; %bb.20:
	global_load_dwordx4 v[0:3], v[0:1], off offset:2016
	ds_read_b128 v[8:11], v192 offset:8160
	ds_read_b128 v[12:15], v7 offset:9792
	s_waitcnt lgkmcnt(0)
	v_add_f64 v[4:5], v[8:9], v[12:13]
	v_add_f64 v[16:17], v[14:15], v[10:11]
	v_add_f64 v[12:13], v[8:9], -v[12:13]
	v_add_f64 v[8:9], v[10:11], -v[14:15]
	s_waitcnt vmcnt(0)
	v_fma_f64 v[10:11], v[12:13], v[2:3], v[4:5]
	v_fma_f64 v[14:15], v[16:17], v[2:3], v[8:9]
	v_fma_f64 v[18:19], -v[12:13], v[2:3], v[4:5]
	v_fma_f64 v[20:21], v[16:17], v[2:3], -v[8:9]
	v_fma_f64 v[2:3], -v[16:17], v[0:1], v[10:11]
	v_fma_f64 v[4:5], v[12:13], v[0:1], v[14:15]
	v_fma_f64 v[8:9], v[16:17], v[0:1], v[18:19]
	;; [unrolled: 1-line block ×3, first 2 shown]
	ds_write_b128 v192, v[2:5] offset:8160
	ds_write_b128 v7, v[8:11] offset:9792
.LBB0_21:
	s_or_b32 exec_lo, exec_lo, s1
	v_add3_u32 v91, 0, v6, v191
	s_waitcnt lgkmcnt(0)
	s_barrier
	buffer_gl0_inv
	s_barrier
	buffer_gl0_inv
	ds_read_b128 v[4:7], v91 offset:16896
	ds_read_b128 v[84:87], v91 offset:1056
	;; [unrolled: 1-line block ×3, first 2 shown]
	ds_read_b128 v[24:27], v192
	ds_read_b128 v[80:83], v91 offset:2112
	s_mov_b32 s8, 0x6c9a05f6
	s_mov_b32 s4, 0x6ed5f1bb
	s_mov_b32 s9, 0xbfe9895b
	s_mov_b32 s5, 0xbfe348c8
	ds_read_b128 v[72:75], v91 offset:3168
	ds_read_b128 v[12:15], v91 offset:14784
	s_mov_b32 s18, 0x923c349f
	s_mov_b32 s14, 0xc61f0d01
	s_mov_b32 s19, 0x3feec746
	s_mov_b32 s15, 0xbfd183b1
	ds_read_b128 v[16:19], v91 offset:13728
	;; [unrolled: 6-line block ×3, first 2 shown]
	ds_read_b128 v[20:23], v91 offset:12672
	s_waitcnt lgkmcnt(9)
	v_add_f64 v[130:131], v[86:87], -v[6:7]
	v_add_f64 v[104:105], v[86:87], v[6:7]
	v_add_f64 v[134:135], v[84:85], v[4:5]
	s_waitcnt lgkmcnt(6)
	v_add_f64 v[118:119], v[82:83], -v[10:11]
	v_add_f64 v[150:151], v[84:85], -v[4:5]
	v_add_f64 v[94:95], v[82:83], v[10:11]
	v_add_f64 v[106:107], v[80:81], v[8:9]
	v_add_f64 v[142:143], v[80:81], -v[8:9]
	s_waitcnt lgkmcnt(4)
	v_add_f64 v[122:123], v[74:75], -v[14:15]
	v_add_f64 v[100:101], v[74:75], v[14:15]
	v_add_f64 v[110:111], v[72:73], v[12:13]
	v_add_f64 v[146:147], v[72:73], -v[12:13]
	s_mov_b32 s16, 0x910ea3b9
	s_mov_b32 s20, 0x4363dd80
	s_waitcnt lgkmcnt(2)
	v_add_f64 v[112:113], v[78:79], -v[18:19]
	v_add_f64 v[96:97], v[78:79], v[18:19]
	s_mov_b32 s17, 0xbfeb34fa
	s_mov_b32 s21, 0xbfe0d888
	v_add_f64 v[108:109], v[76:77], v[16:17]
	v_add_f64 v[144:145], v[76:77], -v[16:17]
	s_waitcnt lgkmcnt(0)
	v_add_f64 v[126:127], v[66:67], -v[22:23]
	v_add_f64 v[98:99], v[66:67], v[22:23]
	v_mul_f64 v[168:169], v[130:131], s[8:9]
	v_mul_f64 v[170:171], v[104:105], s[4:5]
	ds_read_b128 v[28:31], v91 offset:11616
	ds_read_b128 v[68:71], v91 offset:6336
	v_mul_f64 v[172:173], v[118:119], s[18:19]
	v_mul_f64 v[174:175], v[94:95], s[14:15]
	s_mov_b32 s24, 0x3259b75e
	s_mov_b32 s44, 0xeb564b22
	v_mul_f64 v[176:177], v[122:123], s[30:31]
	v_mul_f64 v[180:181], v[100:101], s[6:7]
	s_mov_b32 s25, 0x3fb79ee6
	s_mov_b32 s45, 0x3fefdd0d
	v_add_f64 v[114:115], v[64:65], v[20:21]
	v_add_f64 v[148:149], v[64:65], -v[20:21]
	v_mul_f64 v[178:179], v[112:113], s[20:21]
	v_mul_f64 v[184:185], v[96:97], s[16:17]
	ds_read_b128 v[52:55], v91 offset:7392
	ds_read_b128 v[40:43], v91 offset:10560
	s_mov_b32 s36, 0x75d4884
	s_mov_b32 s38, 0x2a9d6da3
	;; [unrolled: 1-line block ×3, first 2 shown]
	v_mul_f64 v[182:183], v[126:127], s[44:45]
	v_mul_f64 v[188:189], v[98:99], s[24:25]
	v_fma_f64 v[0:1], v[134:135], s[4:5], -v[168:169]
	v_fma_f64 v[2:3], v[150:151], s[8:9], v[170:171]
	s_waitcnt lgkmcnt(2)
	v_add_f64 v[136:137], v[70:71], -v[30:31]
	v_add_f64 v[102:103], v[70:71], v[30:31]
	v_fma_f64 v[32:33], v[106:107], s[14:15], -v[172:173]
	v_fma_f64 v[34:35], v[142:143], s[18:19], v[174:175]
	s_mov_b32 s39, 0xbfe58eea
	v_add_f64 v[132:133], v[68:69], v[28:29]
	v_fma_f64 v[36:37], v[110:111], s[6:7], -v[176:177]
	v_fma_f64 v[38:39], v[146:147], s[30:31], v[180:181]
	v_add_f64 v[156:157], v[68:69], -v[28:29]
	ds_read_b128 v[48:51], v91 offset:8448
	ds_read_b128 v[44:47], v91 offset:9504
	s_mov_b32 s22, 0x7faef3
	s_mov_b32 s26, 0xacd6c6b4
	s_waitcnt lgkmcnt(2)
	v_add_f64 v[140:141], v[54:55], -v[42:43]
	v_add_f64 v[116:117], v[54:55], v[42:43]
	s_mov_b32 s23, 0xbfef7484
	s_mov_b32 s27, 0xbfc7851a
	v_add_f64 v[124:125], v[52:53], v[40:41]
	v_add_f64 v[152:153], v[52:53], -v[40:41]
	s_mov_b32 s28, 0x2b2883cd
	s_mov_b32 s34, 0x7c9e640b
	v_add_f64 v[0:1], v[24:25], v[0:1]
	v_add_f64 v[2:3], v[26:27], v[2:3]
	v_mul_f64 v[164:165], v[136:137], s[38:39]
	v_mul_f64 v[186:187], v[102:103], s[36:37]
	s_mov_b32 s29, 0x3fdc86fa
	s_mov_b32 s35, 0x3feca52d
	s_mov_b32 s33, exec_lo
	s_waitcnt lgkmcnt(0)
	s_barrier
	v_add_f64 v[138:139], v[50:51], -v[46:47]
	v_add_f64 v[120:121], v[50:51], v[46:47]
	v_add_f64 v[128:129], v[48:49], v[44:45]
	v_add_f64 v[154:155], v[48:49], -v[44:45]
	buffer_gl0_inv
	v_mul_f64 v[160:161], v[140:141], s[26:27]
	v_mul_f64 v[166:167], v[116:117], s[22:23]
	v_add_f64 v[0:1], v[32:33], v[0:1]
	v_add_f64 v[2:3], v[34:35], v[2:3]
	v_fma_f64 v[32:33], v[108:109], s[16:17], -v[178:179]
	v_fma_f64 v[34:35], v[144:145], s[20:21], v[184:185]
	v_mul_f64 v[158:159], v[138:139], s[34:35]
	v_mul_f64 v[162:163], v[120:121], s[28:29]
	v_add_f64 v[0:1], v[36:37], v[0:1]
	v_add_f64 v[2:3], v[38:39], v[2:3]
	v_fma_f64 v[36:37], v[114:115], s[24:25], -v[182:183]
	v_fma_f64 v[38:39], v[148:149], s[44:45], v[188:189]
	v_add_f64 v[0:1], v[32:33], v[0:1]
	v_add_f64 v[2:3], v[34:35], v[2:3]
	v_fma_f64 v[32:33], v[132:133], s[36:37], -v[164:165]
	v_fma_f64 v[34:35], v[156:157], s[38:39], v[186:187]
	;; [unrolled: 4-line block ×4, first 2 shown]
	v_add_f64 v[0:1], v[36:37], v[0:1]
	v_add_f64 v[2:3], v[38:39], v[2:3]
	;; [unrolled: 1-line block ×4, first 2 shown]
	v_cmpx_gt_u32_e32 0x42, v90
	s_cbranch_execz .LBB0_23
; %bb.22:
	v_mul_f64 v[36:37], v[150:151], s[26:27]
	s_mov_b32 s1, 0x3fd71e95
	s_mov_b32 s0, s30
	v_mul_f64 v[56:57], v[130:131], s[26:27]
	v_mul_f64 v[38:39], v[142:143], s[0:1]
	;; [unrolled: 1-line block ×3, first 2 shown]
	s_mov_b32 s43, 0x3fe58eea
	s_mov_b32 s42, s38
	;; [unrolled: 1-line block ×4, first 2 shown]
	v_mul_f64 v[211:212], v[154:155], s[44:45]
	v_mul_f64 v[213:214], v[138:139], s[44:45]
	s_mov_b32 s47, 0xbfefdd0d
	s_mov_b32 s46, s44
	;; [unrolled: 1-line block ×4, first 2 shown]
	v_mul_f64 v[219:220], v[154:155], s[40:41]
	v_mul_f64 v[221:222], v[138:139], s[40:41]
	s_mov_b32 s51, 0x3fe0d888
	s_mov_b32 s50, s20
	v_add_f64 v[86:87], v[26:27], v[86:87]
	v_add_f64 v[84:85], v[24:25], v[84:85]
	v_fma_f64 v[32:33], v[104:105], s[22:23], v[36:37]
	v_fma_f64 v[36:37], v[104:105], s[22:23], -v[36:37]
	s_mov_b32 s53, 0xbfeca52d
	s_mov_b32 s52, s34
	v_fma_f64 v[34:35], v[94:95], s[6:7], v[38:39]
	v_fma_f64 v[60:61], v[106:107], s[6:7], -v[58:59]
	v_fma_f64 v[38:39], v[94:95], s[6:7], -v[38:39]
	v_add_f64 v[82:83], v[86:87], v[82:83]
	v_add_f64 v[80:81], v[84:85], v[80:81]
	;; [unrolled: 1-line block ×7, first 2 shown]
	v_fma_f64 v[34:35], v[134:135], s[22:23], -v[56:57]
	v_add_f64 v[36:37], v[38:39], v[36:37]
	v_fma_f64 v[38:39], v[134:135], s[22:23], v[56:57]
	v_fma_f64 v[56:57], v[106:107], s[6:7], v[58:59]
	;; [unrolled: 1-line block ×3, first 2 shown]
	v_mul_f64 v[80:81], v[122:123], s[42:43]
	v_add_f64 v[78:79], v[74:75], v[78:79]
	v_add_f64 v[76:77], v[72:73], v[76:77]
	;; [unrolled: 1-line block ×6, first 2 shown]
	v_mul_f64 v[76:77], v[146:147], s[18:19]
	v_add_f64 v[34:35], v[60:61], v[34:35]
	v_mul_f64 v[60:61], v[146:147], s[20:21]
	v_add_f64 v[38:39], v[56:57], v[38:39]
	v_add_f64 v[66:67], v[66:67], v[70:71]
	;; [unrolled: 1-line block ×3, first 2 shown]
	v_fma_f64 v[68:69], v[100:101], s[14:15], v[76:77]
	v_fma_f64 v[76:77], v[100:101], s[14:15], -v[76:77]
	v_fma_f64 v[62:63], v[100:101], s[16:17], v[60:61]
	v_fma_f64 v[56:57], v[100:101], s[16:17], -v[60:61]
	v_mul_f64 v[60:61], v[150:151], s[20:21]
	v_add_f64 v[54:55], v[66:67], v[54:55]
	v_add_f64 v[52:53], v[64:65], v[52:53]
	v_mul_f64 v[64:65], v[112:113], s[0:1]
	v_add_f64 v[32:33], v[62:63], v[32:33]
	v_mul_f64 v[62:63], v[122:123], s[20:21]
	v_add_f64 v[36:37], v[56:57], v[36:37]
	v_add_f64 v[50:51], v[54:55], v[50:51]
	;; [unrolled: 1-line block ×3, first 2 shown]
	v_mul_f64 v[54:55], v[118:119], s[8:9]
	v_fma_f64 v[193:194], v[110:111], s[16:17], -v[62:63]
	v_fma_f64 v[56:57], v[110:111], s[16:17], v[62:63]
	v_mul_f64 v[62:63], v[142:143], s[34:35]
	v_add_f64 v[46:47], v[50:51], v[46:47]
	v_add_f64 v[44:45], v[48:49], v[44:45]
	v_mul_f64 v[48:49], v[150:151], s[38:39]
	v_mul_f64 v[50:51], v[130:131], s[38:39]
	v_add_f64 v[34:35], v[193:194], v[34:35]
	v_mul_f64 v[193:194], v[144:145], s[42:43]
	v_add_f64 v[38:39], v[56:57], v[38:39]
	v_add_f64 v[42:43], v[46:47], v[42:43]
	;; [unrolled: 1-line block ×3, first 2 shown]
	v_fma_f64 v[195:196], v[96:97], s[36:37], v[193:194]
	v_fma_f64 v[56:57], v[96:97], s[36:37], -v[193:194]
	v_mul_f64 v[193:194], v[130:131], s[20:21]
	v_add_f64 v[30:31], v[42:43], v[30:31]
	v_add_f64 v[28:29], v[40:41], v[28:29]
	v_mul_f64 v[42:43], v[146:147], s[52:53]
	v_add_f64 v[32:33], v[195:196], v[32:33]
	v_mul_f64 v[195:196], v[112:113], s[42:43]
	v_add_f64 v[36:37], v[56:57], v[36:37]
	v_add_f64 v[22:23], v[30:31], v[22:23]
	;; [unrolled: 1-line block ×3, first 2 shown]
	v_fma_f64 v[197:198], v[108:109], s[36:37], -v[195:196]
	v_fma_f64 v[56:57], v[108:109], s[36:37], v[195:196]
	v_mul_f64 v[195:196], v[118:119], s[34:35]
	v_add_f64 v[18:19], v[22:23], v[18:19]
	v_add_f64 v[16:17], v[20:21], v[16:17]
	;; [unrolled: 1-line block ×3, first 2 shown]
	v_mul_f64 v[197:198], v[148:149], s[8:9]
	v_add_f64 v[38:39], v[56:57], v[38:39]
	v_add_f64 v[14:15], v[18:19], v[14:15]
	;; [unrolled: 1-line block ×3, first 2 shown]
	v_fma_f64 v[199:200], v[98:99], s[4:5], v[197:198]
	v_fma_f64 v[56:57], v[98:99], s[4:5], -v[197:198]
	v_fma_f64 v[197:198], v[106:107], s[28:29], -v[195:196]
	v_add_f64 v[10:11], v[14:15], v[10:11]
	v_add_f64 v[14:15], v[12:13], v[8:9]
	;; [unrolled: 1-line block ×3, first 2 shown]
	v_mul_f64 v[199:200], v[126:127], s[8:9]
	v_add_f64 v[36:37], v[56:57], v[36:37]
	v_fma_f64 v[201:202], v[114:115], s[4:5], -v[199:200]
	v_fma_f64 v[56:57], v[114:115], s[4:5], v[199:200]
	v_add_f64 v[34:35], v[201:202], v[34:35]
	v_mul_f64 v[201:202], v[156:157], s[34:35]
	v_add_f64 v[38:39], v[56:57], v[38:39]
	v_fma_f64 v[203:204], v[102:103], s[28:29], v[201:202]
	v_fma_f64 v[56:57], v[102:103], s[28:29], -v[201:202]
	v_add_f64 v[32:33], v[203:204], v[32:33]
	v_mul_f64 v[203:204], v[136:137], s[34:35]
	v_add_f64 v[36:37], v[56:57], v[36:37]
	v_fma_f64 v[205:206], v[132:133], s[28:29], -v[203:204]
	v_fma_f64 v[56:57], v[132:133], s[28:29], v[203:204]
	v_add_f64 v[34:35], v[205:206], v[34:35]
	v_mul_f64 v[205:206], v[152:153], s[40:41]
	v_add_f64 v[38:39], v[56:57], v[38:39]
	v_fma_f64 v[207:208], v[116:117], s[14:15], v[205:206]
	v_fma_f64 v[56:57], v[116:117], s[14:15], -v[205:206]
	v_add_f64 v[32:33], v[207:208], v[32:33]
	v_mul_f64 v[207:208], v[140:141], s[40:41]
	v_add_f64 v[36:37], v[56:57], v[36:37]
	v_fma_f64 v[56:57], v[124:125], s[14:15], v[207:208]
	v_fma_f64 v[209:210], v[124:125], s[14:15], -v[207:208]
	v_add_f64 v[56:57], v[56:57], v[38:39]
	v_fma_f64 v[38:39], v[120:121], s[24:25], -v[211:212]
	v_add_f64 v[209:210], v[209:210], v[34:35]
	v_fma_f64 v[34:35], v[120:121], s[24:25], v[211:212]
	v_add_f64 v[38:39], v[38:39], v[36:37]
	v_add_f64 v[36:37], v[58:59], v[56:57]
	v_fma_f64 v[56:57], v[104:105], s[16:17], v[60:61]
	v_fma_f64 v[58:59], v[94:95], s[28:29], v[62:63]
	v_fma_f64 v[60:61], v[104:105], s[16:17], -v[60:61]
	v_fma_f64 v[62:63], v[94:95], s[28:29], -v[62:63]
	v_add_f64 v[34:35], v[34:35], v[32:33]
	v_fma_f64 v[32:33], v[128:129], s[24:25], -v[213:214]
	v_add_f64 v[56:57], v[26:27], v[56:57]
	v_add_f64 v[60:61], v[26:27], v[60:61]
	;; [unrolled: 1-line block ×4, first 2 shown]
	v_fma_f64 v[58:59], v[134:135], s[16:17], -v[193:194]
	v_add_f64 v[60:61], v[62:63], v[60:61]
	v_fma_f64 v[62:63], v[134:135], s[16:17], v[193:194]
	v_fma_f64 v[193:194], v[106:107], s[28:29], v[195:196]
	;; [unrolled: 1-line block ×3, first 2 shown]
	v_add_f64 v[58:59], v[24:25], v[58:59]
	v_add_f64 v[62:63], v[24:25], v[62:63]
	;; [unrolled: 1-line block ×3, first 2 shown]
	v_mul_f64 v[197:198], v[146:147], s[46:47]
	v_add_f64 v[62:63], v[193:194], v[62:63]
	v_fma_f64 v[199:200], v[100:101], s[24:25], v[197:198]
	v_fma_f64 v[193:194], v[100:101], s[24:25], -v[197:198]
	v_add_f64 v[56:57], v[199:200], v[56:57]
	v_mul_f64 v[199:200], v[122:123], s[46:47]
	v_add_f64 v[60:61], v[193:194], v[60:61]
	v_fma_f64 v[201:202], v[110:111], s[24:25], -v[199:200]
	v_fma_f64 v[193:194], v[110:111], s[24:25], v[199:200]
	v_add_f64 v[58:59], v[201:202], v[58:59]
	v_mul_f64 v[201:202], v[144:145], s[48:49]
	v_add_f64 v[62:63], v[193:194], v[62:63]
	v_fma_f64 v[203:204], v[96:97], s[4:5], v[201:202]
	v_fma_f64 v[193:194], v[96:97], s[4:5], -v[201:202]
	v_add_f64 v[56:57], v[203:204], v[56:57]
	v_mul_f64 v[203:204], v[112:113], s[48:49]
	v_add_f64 v[60:61], v[193:194], v[60:61]
	v_fma_f64 v[205:206], v[108:109], s[4:5], -v[203:204]
	v_fma_f64 v[193:194], v[108:109], s[4:5], v[203:204]
	v_add_f64 v[58:59], v[205:206], v[58:59]
	;; [unrolled: 10-line block ×4, first 2 shown]
	v_mul_f64 v[213:214], v[152:153], s[42:43]
	v_add_f64 v[62:63], v[193:194], v[62:63]
	v_fma_f64 v[215:216], v[116:117], s[36:37], v[213:214]
	v_fma_f64 v[193:194], v[116:117], s[36:37], -v[213:214]
	v_add_f64 v[56:57], v[215:216], v[56:57]
	v_mul_f64 v[215:216], v[140:141], s[42:43]
	v_add_f64 v[60:61], v[193:194], v[60:61]
	v_fma_f64 v[193:194], v[124:125], s[36:37], v[215:216]
	v_fma_f64 v[217:218], v[124:125], s[36:37], -v[215:216]
	v_add_f64 v[193:194], v[193:194], v[62:63]
	v_fma_f64 v[62:63], v[120:121], s[14:15], -v[219:220]
	v_add_f64 v[217:218], v[217:218], v[58:59]
	v_fma_f64 v[58:59], v[120:121], s[14:15], v[219:220]
	v_add_f64 v[62:63], v[62:63], v[60:61]
	v_add_f64 v[60:61], v[195:196], v[193:194]
	v_mul_f64 v[193:194], v[148:149], s[44:45]
	v_add_f64 v[58:59], v[58:59], v[56:57]
	v_fma_f64 v[56:57], v[128:129], s[14:15], -v[221:222]
	v_add_f64 v[188:189], v[188:189], -v[193:194]
	v_mul_f64 v[193:194], v[144:145], s[20:21]
	v_add_f64 v[56:57], v[56:57], v[217:218]
	v_add_f64 v[184:185], v[184:185], -v[193:194]
	v_mul_f64 v[193:194], v[146:147], s[30:31]
	v_add_f64 v[180:181], v[180:181], -v[193:194]
	v_mul_f64 v[193:194], v[142:143], s[18:19]
	;; [unrolled: 2-line block ×4, first 2 shown]
	v_add_f64 v[170:171], v[26:27], v[170:171]
	v_add_f64 v[176:177], v[193:194], v[176:177]
	v_mul_f64 v[193:194], v[106:107], s[14:15]
	v_add_f64 v[170:171], v[174:175], v[170:171]
	v_add_f64 v[172:173], v[193:194], v[172:173]
	v_mul_f64 v[193:194], v[134:135], s[4:5]
	v_add_f64 v[170:171], v[180:181], v[170:171]
	v_mul_f64 v[180:181], v[152:153], s[26:27]
	v_add_f64 v[168:169], v[193:194], v[168:169]
	v_add_f64 v[184:185], v[184:185], v[170:171]
	v_mul_f64 v[170:171], v[156:157], s[38:39]
	v_add_f64 v[166:167], v[166:167], -v[180:181]
	v_add_f64 v[168:169], v[24:25], v[168:169]
	v_mul_f64 v[180:181], v[124:125], s[22:23]
	v_add_f64 v[170:171], v[186:187], -v[170:171]
	v_add_f64 v[168:169], v[172:173], v[168:169]
	v_mul_f64 v[172:173], v[108:109], s[16:17]
	v_add_f64 v[160:161], v[180:181], v[160:161]
	v_add_f64 v[168:169], v[176:177], v[168:169]
	;; [unrolled: 1-line block ×3, first 2 shown]
	v_mul_f64 v[172:173], v[114:115], s[24:25]
	v_mul_f64 v[178:179], v[132:133], s[36:37]
	v_add_f64 v[176:177], v[174:175], v[168:169]
	v_add_f64 v[172:173], v[172:173], v[182:183]
	v_mul_f64 v[168:169], v[150:151], s[40:41]
	v_add_f64 v[174:175], v[188:189], v[184:185]
	v_mul_f64 v[182:183], v[142:143], s[50:51]
	;; [unrolled: 2-line block ×3, first 2 shown]
	v_add_f64 v[172:173], v[172:173], v[176:177]
	v_fma_f64 v[178:179], v[104:105], s[14:15], v[168:169]
	v_mul_f64 v[176:177], v[154:155], s[34:35]
	v_add_f64 v[170:171], v[170:171], v[174:175]
	v_mul_f64 v[174:175], v[130:131], s[40:41]
	v_fma_f64 v[84:85], v[94:95], s[16:17], v[182:183]
	v_fma_f64 v[168:169], v[104:105], s[14:15], -v[168:169]
	v_fma_f64 v[182:183], v[94:95], s[16:17], -v[182:183]
	v_add_f64 v[164:165], v[164:165], v[172:173]
	v_add_f64 v[86:87], v[26:27], v[178:179]
	v_mul_f64 v[178:179], v[146:147], s[42:43]
	v_add_f64 v[162:163], v[162:163], -v[176:177]
	v_mul_f64 v[176:177], v[118:119], s[50:51]
	v_fma_f64 v[180:181], v[134:135], s[14:15], -v[174:175]
	v_mul_f64 v[172:173], v[128:129], s[28:29]
	v_add_f64 v[166:167], v[166:167], v[170:171]
	v_mul_f64 v[170:171], v[144:145], s[52:53]
	v_add_f64 v[168:169], v[26:27], v[168:169]
	v_fma_f64 v[174:175], v[134:135], s[14:15], v[174:175]
	v_add_f64 v[160:161], v[160:161], v[164:165]
	v_add_f64 v[84:85], v[84:85], v[86:87]
	v_fma_f64 v[86:87], v[100:101], s[36:37], v[178:179]
	v_fma_f64 v[178:179], v[100:101], s[36:37], -v[178:179]
	v_fma_f64 v[82:83], v[106:107], s[16:17], -v[176:177]
	v_add_f64 v[180:181], v[24:25], v[180:181]
	v_add_f64 v[158:159], v[172:173], v[158:159]
	v_mul_f64 v[172:173], v[150:151], s[46:47]
	v_fma_f64 v[164:165], v[96:97], s[28:29], v[170:171]
	v_add_f64 v[168:169], v[182:183], v[168:169]
	v_mul_f64 v[182:183], v[112:113], s[52:53]
	v_fma_f64 v[176:177], v[106:107], s[16:17], v[176:177]
	v_add_f64 v[174:175], v[24:25], v[174:175]
	v_add_f64 v[74:75], v[162:163], v[166:167]
	v_fma_f64 v[166:167], v[96:97], s[28:29], -v[170:171]
	v_mul_f64 v[170:171], v[126:127], s[26:27]
	v_add_f64 v[84:85], v[86:87], v[84:85]
	v_mul_f64 v[86:87], v[148:149], s[26:27]
	v_add_f64 v[82:83], v[82:83], v[180:181]
	v_fma_f64 v[180:181], v[110:111], s[36:37], -v[80:81]
	v_fma_f64 v[186:187], v[104:105], s[24:25], v[172:173]
	v_add_f64 v[72:73], v[158:159], v[160:161]
	v_mul_f64 v[158:159], v[130:131], s[46:47]
	v_fma_f64 v[160:161], v[108:109], s[28:29], -v[182:183]
	v_add_f64 v[168:169], v[178:179], v[168:169]
	v_fma_f64 v[80:81], v[110:111], s[36:37], v[80:81]
	v_add_f64 v[174:175], v[176:177], v[174:175]
	v_fma_f64 v[176:177], v[94:95], s[22:23], v[184:185]
	v_fma_f64 v[172:173], v[104:105], s[24:25], -v[172:173]
	v_add_f64 v[84:85], v[164:165], v[84:85]
	v_fma_f64 v[162:163], v[98:99], s[22:23], v[86:87]
	v_mul_f64 v[164:165], v[156:157], s[44:45]
	v_fma_f64 v[86:87], v[98:99], s[22:23], -v[86:87]
	v_add_f64 v[82:83], v[180:181], v[82:83]
	v_add_f64 v[178:179], v[26:27], v[186:187]
	v_fma_f64 v[180:181], v[108:109], s[28:29], v[182:183]
	v_fma_f64 v[182:183], v[94:95], s[22:23], -v[184:185]
	v_add_f64 v[166:167], v[166:167], v[168:169]
	v_fma_f64 v[168:169], v[114:115], s[22:23], -v[170:171]
	v_add_f64 v[80:81], v[80:81], v[174:175]
	v_mul_f64 v[174:175], v[136:137], s[44:45]
	v_add_f64 v[172:173], v[26:27], v[172:173]
	v_fma_f64 v[170:171], v[114:115], s[22:23], v[170:171]
	s_mov_b32 s45, 0x3fc7851a
	s_mov_b32 s44, s26
	v_add_f64 v[78:79], v[162:163], v[84:85]
	v_mul_f64 v[84:85], v[118:119], s[26:27]
	v_fma_f64 v[162:163], v[134:135], s[24:25], -v[158:159]
	v_add_f64 v[82:83], v[160:161], v[82:83]
	v_fma_f64 v[160:161], v[102:103], s[24:25], v[164:165]
	v_add_f64 v[176:177], v[176:177], v[178:179]
	v_mul_f64 v[178:179], v[144:145], s[0:1]
	v_fma_f64 v[164:165], v[102:103], s[24:25], -v[164:165]
	v_add_f64 v[86:87], v[86:87], v[166:167]
	v_fma_f64 v[158:159], v[134:135], s[24:25], v[158:159]
	v_add_f64 v[80:81], v[180:181], v[80:81]
	v_fma_f64 v[166:167], v[132:133], s[24:25], -v[174:175]
	v_mul_f64 v[180:181], v[140:141], s[30:31]
	v_add_f64 v[172:173], v[182:183], v[172:173]
	v_fma_f64 v[174:175], v[132:133], s[24:25], v[174:175]
	v_fma_f64 v[70:71], v[106:107], s[22:23], -v[84:85]
	v_add_f64 v[162:163], v[24:25], v[162:163]
	v_add_f64 v[82:83], v[168:169], v[82:83]
	;; [unrolled: 1-line block ×3, first 2 shown]
	v_mul_f64 v[160:161], v[122:123], s[18:19]
	v_mul_f64 v[168:169], v[152:153], s[30:31]
	v_add_f64 v[68:69], v[68:69], v[176:177]
	v_mul_f64 v[176:177], v[148:149], s[52:53]
	v_add_f64 v[86:87], v[164:165], v[86:87]
	;; [unrolled: 2-line block ×4, first 2 shown]
	v_fma_f64 v[172:173], v[108:109], s[6:7], -v[64:65]
	v_fma_f64 v[84:85], v[106:107], s[22:23], v[84:85]
	v_add_f64 v[158:159], v[24:25], v[158:159]
	v_fma_f64 v[64:65], v[108:109], s[6:7], v[64:65]
	v_mul_f64 v[150:151], v[150:151], s[30:31]
	v_mul_f64 v[130:131], v[130:131], s[30:31]
	v_add_f64 v[70:71], v[70:71], v[162:163]
	v_fma_f64 v[162:163], v[96:97], s[6:7], v[178:179]
	v_add_f64 v[82:83], v[166:167], v[82:83]
	v_fma_f64 v[182:183], v[110:111], s[14:15], -v[160:161]
	v_fma_f64 v[66:67], v[116:117], s[6:7], v[168:169]
	v_fma_f64 v[166:167], v[124:125], s[6:7], -v[180:181]
	v_fma_f64 v[178:179], v[96:97], s[6:7], -v[178:179]
	;; [unrolled: 1-line block ×3, first 2 shown]
	v_fma_f64 v[52:53], v[104:105], s[28:29], v[164:165]
	v_fma_f64 v[180:181], v[124:125], s[6:7], v[180:181]
	v_add_f64 v[80:81], v[174:175], v[80:81]
	v_fma_f64 v[164:165], v[104:105], s[28:29], -v[164:165]
	v_fma_f64 v[160:161], v[110:111], s[14:15], v[160:161]
	v_add_f64 v[84:85], v[84:85], v[158:159]
	v_mul_f64 v[158:159], v[136:137], s[20:21]
	v_fma_f64 v[44:45], v[104:105], s[6:7], v[150:151]
	v_fma_f64 v[46:47], v[134:135], s[6:7], -v[130:131]
	v_fma_f64 v[130:131], v[134:135], s[6:7], v[130:131]
	v_add_f64 v[68:69], v[162:163], v[68:69]
	v_mul_f64 v[162:163], v[156:157], s[20:21]
	v_add_f64 v[70:71], v[182:183], v[70:71]
	v_fma_f64 v[182:183], v[98:99], s[28:29], v[176:177]
	v_add_f64 v[66:67], v[66:67], v[78:79]
	v_mul_f64 v[78:79], v[126:127], s[52:53]
	v_add_f64 v[82:83], v[166:167], v[82:83]
	v_mul_f64 v[166:167], v[142:143], s[8:9]
	;; [unrolled: 2-line block ×3, first 2 shown]
	v_fma_f64 v[176:177], v[98:99], s[28:29], -v[176:177]
	v_add_f64 v[86:87], v[168:169], v[86:87]
	v_add_f64 v[52:53], v[26:27], v[52:53]
	;; [unrolled: 1-line block ×3, first 2 shown]
	v_mul_f64 v[180:181], v[146:147], s[44:45]
	v_add_f64 v[164:165], v[26:27], v[164:165]
	v_add_f64 v[84:85], v[160:161], v[84:85]
	v_fma_f64 v[160:161], v[132:133], s[16:17], -v[158:159]
	v_add_f64 v[44:45], v[26:27], v[44:45]
	v_add_f64 v[46:47], v[24:25], v[46:47]
	v_fma_f64 v[158:159], v[132:133], s[16:17], v[158:159]
	v_fma_f64 v[174:175], v[102:103], s[16:17], v[162:163]
	v_add_f64 v[70:71], v[172:173], v[70:71]
	v_add_f64 v[68:69], v[182:183], v[68:69]
	v_fma_f64 v[182:183], v[134:135], s[28:29], -v[170:171]
	v_fma_f64 v[172:173], v[114:115], s[28:29], -v[78:79]
	;; [unrolled: 1-line block ×3, first 2 shown]
	v_fma_f64 v[168:169], v[94:95], s[4:5], v[166:167]
	v_fma_f64 v[166:167], v[94:95], s[4:5], -v[166:167]
	v_fma_f64 v[170:171], v[134:135], s[28:29], v[170:171]
	v_add_f64 v[76:77], v[176:177], v[76:77]
	v_mul_f64 v[176:177], v[122:123], s[44:45]
	v_fma_f64 v[78:79], v[114:115], s[28:29], v[78:79]
	v_add_f64 v[64:65], v[64:65], v[84:85]
	v_mul_f64 v[84:85], v[148:149], s[42:43]
	v_add_f64 v[68:69], v[174:175], v[68:69]
	v_fma_f64 v[174:175], v[106:107], s[4:5], -v[54:55]
	v_add_f64 v[182:183], v[24:25], v[182:183]
	v_add_f64 v[70:71], v[172:173], v[70:71]
	v_fma_f64 v[172:173], v[116:117], s[4:5], v[178:179]
	v_add_f64 v[52:53], v[168:169], v[52:53]
	v_add_f64 v[164:165], v[166:167], v[164:165]
	v_mul_f64 v[166:167], v[144:145], s[18:19]
	v_mul_f64 v[168:169], v[140:141], s[48:49]
	v_add_f64 v[76:77], v[162:163], v[76:77]
	v_fma_f64 v[178:179], v[116:117], s[4:5], -v[178:179]
	v_fma_f64 v[54:55], v[106:107], s[4:5], v[54:55]
	v_add_f64 v[170:171], v[24:25], v[170:171]
	v_add_f64 v[64:65], v[78:79], v[64:65]
	v_mul_f64 v[78:79], v[156:157], s[30:31]
	v_add_f64 v[174:175], v[174:175], v[182:183]
	v_fma_f64 v[182:183], v[100:101], s[22:23], v[180:181]
	v_add_f64 v[68:69], v[172:173], v[68:69]
	v_fma_f64 v[172:173], v[110:111], s[22:23], -v[176:177]
	v_fma_f64 v[180:181], v[100:101], s[22:23], -v[180:181]
	v_add_f64 v[70:71], v[160:161], v[70:71]
	v_mul_f64 v[160:161], v[112:113], s[18:19]
	v_fma_f64 v[162:163], v[124:125], s[4:5], -v[168:169]
	v_add_f64 v[76:77], v[178:179], v[76:77]
	v_fma_f64 v[176:177], v[110:111], s[22:23], v[176:177]
	v_add_f64 v[54:55], v[54:55], v[170:171]
	v_fma_f64 v[170:171], v[98:99], s[36:37], v[84:85]
	v_fma_f64 v[84:85], v[98:99], s[36:37], -v[84:85]
	v_add_f64 v[64:65], v[158:159], v[64:65]
	v_mul_f64 v[158:159], v[138:139], s[42:43]
	v_fma_f64 v[168:169], v[124:125], s[4:5], v[168:169]
	v_add_f64 v[52:53], v[182:183], v[52:53]
	v_fma_f64 v[182:183], v[96:97], s[14:15], v[166:167]
	v_add_f64 v[172:173], v[172:173], v[174:175]
	v_mul_f64 v[174:175], v[126:127], s[42:43]
	v_add_f64 v[164:165], v[180:181], v[164:165]
	v_fma_f64 v[180:181], v[108:109], s[14:15], -v[160:161]
	v_fma_f64 v[166:167], v[96:97], s[14:15], -v[166:167]
	v_add_f64 v[70:71], v[162:163], v[70:71]
	v_mul_f64 v[162:163], v[154:155], s[8:9]
	v_add_f64 v[54:55], v[176:177], v[54:55]
	v_fma_f64 v[160:161], v[108:109], s[14:15], v[160:161]
	v_add_f64 v[64:65], v[168:169], v[64:65]
	v_add_f64 v[52:53], v[182:183], v[52:53]
	v_fma_f64 v[182:183], v[134:135], s[36:37], -v[50:51]
	v_fma_f64 v[178:179], v[114:115], s[36:37], -v[174:175]
	v_fma_f64 v[50:51], v[134:135], s[36:37], v[50:51]
	v_add_f64 v[172:173], v[180:181], v[172:173]
	v_mul_f64 v[180:181], v[136:137], s[30:31]
	v_add_f64 v[164:165], v[166:167], v[164:165]
	v_fma_f64 v[166:167], v[104:105], s[36:37], v[48:49]
	v_fma_f64 v[48:49], v[104:105], s[36:37], -v[48:49]
	v_fma_f64 v[104:105], v[104:105], s[6:7], -v[150:151]
	v_mul_f64 v[134:135], v[142:143], s[46:47]
	v_mul_f64 v[142:143], v[142:143], s[38:39]
	;; [unrolled: 1-line block ×3, first 2 shown]
	v_fma_f64 v[176:177], v[120:121], s[4:5], -v[162:163]
	v_add_f64 v[54:55], v[160:161], v[54:55]
	v_fma_f64 v[160:161], v[114:115], s[36:37], v[174:175]
	v_mul_f64 v[174:175], v[154:155], s[42:43]
	v_fma_f64 v[162:163], v[120:121], s[4:5], v[162:163]
	v_add_f64 v[52:53], v[170:171], v[52:53]
	v_fma_f64 v[170:171], v[102:103], s[6:7], v[78:79]
	v_fma_f64 v[78:79], v[102:103], s[6:7], -v[78:79]
	v_add_f64 v[182:183], v[24:25], v[182:183]
	v_add_f64 v[172:173], v[178:179], v[172:173]
	v_fma_f64 v[178:179], v[132:133], s[6:7], -v[180:181]
	v_add_f64 v[84:85], v[84:85], v[164:165]
	v_mul_f64 v[164:165], v[118:119], s[46:47]
	v_mul_f64 v[118:119], v[118:119], s[38:39]
	v_add_f64 v[166:167], v[26:27], v[166:167]
	v_add_f64 v[48:49], v[26:27], v[48:49]
	;; [unrolled: 1-line block ×5, first 2 shown]
	v_fma_f64 v[24:25], v[94:95], s[24:25], -v[134:135]
	v_mul_f64 v[130:131], v[146:147], s[8:9]
	v_fma_f64 v[134:135], v[94:95], s[24:25], v[134:135]
	v_fma_f64 v[40:41], v[94:95], s[36:37], -v[142:143]
	v_mul_f64 v[146:147], v[122:123], s[8:9]
	v_mul_f64 v[122:123], v[122:123], s[52:53]
	v_fma_f64 v[94:95], v[94:95], s[36:37], v[142:143]
	v_fma_f64 v[142:143], v[120:121], s[36:37], v[174:175]
	v_add_f64 v[54:55], v[160:161], v[54:55]
	v_add_f64 v[52:53], v[170:171], v[52:53]
	v_fma_f64 v[180:181], v[132:133], s[6:7], v[180:181]
	v_fma_f64 v[160:161], v[128:129], s[36:37], -v[158:159]
	v_fma_f64 v[158:159], v[128:129], s[36:37], v[158:159]
	v_add_f64 v[170:171], v[178:179], v[172:173]
	v_add_f64 v[78:79], v[78:79], v[84:85]
	v_fma_f64 v[172:173], v[106:107], s[24:25], -v[164:165]
	v_fma_f64 v[164:165], v[106:107], s[24:25], v[164:165]
	v_fma_f64 v[178:179], v[106:107], s[36:37], v[118:119]
	v_fma_f64 v[84:85], v[128:129], s[4:5], -v[150:151]
	v_fma_f64 v[106:107], v[106:107], s[36:37], -v[118:119]
	v_mul_f64 v[118:119], v[152:153], s[46:47]
	v_add_f64 v[48:49], v[24:25], v[48:49]
	v_fma_f64 v[184:185], v[100:101], s[4:5], -v[130:131]
	v_add_f64 v[24:25], v[176:177], v[86:87]
	v_fma_f64 v[86:87], v[128:129], s[4:5], v[150:151]
	v_mul_f64 v[150:151], v[144:145], s[26:27]
	v_add_f64 v[134:135], v[134:135], v[166:167]
	v_add_f64 v[26:27], v[40:41], v[26:27]
	v_fma_f64 v[40:41], v[100:101], s[28:29], -v[42:43]
	v_fma_f64 v[130:131], v[100:101], s[4:5], v[130:131]
	v_mul_f64 v[144:145], v[144:145], s[46:47]
	v_fma_f64 v[166:167], v[120:121], s[36:37], -v[174:175]
	v_fma_f64 v[174:175], v[110:111], s[4:5], v[146:147]
	v_fma_f64 v[146:147], v[110:111], s[4:5], -v[146:147]
	v_fma_f64 v[42:43], v[100:101], s[28:29], v[42:43]
	v_add_f64 v[44:45], v[94:95], v[44:45]
	v_add_f64 v[172:173], v[172:173], v[182:183]
	;; [unrolled: 1-line block ×4, first 2 shown]
	v_fma_f64 v[164:165], v[110:111], s[28:29], v[122:123]
	v_mul_f64 v[178:179], v[112:113], s[46:47]
	v_mul_f64 v[112:113], v[112:113], s[26:27]
	v_fma_f64 v[110:111], v[110:111], s[28:29], -v[122:123]
	v_add_f64 v[46:47], v[106:107], v[46:47]
	v_add_f64 v[48:49], v[184:185], v[48:49]
	v_mul_f64 v[122:123], v[148:149], s[50:51]
	v_mul_f64 v[148:149], v[148:149], s[40:41]
	v_fma_f64 v[100:101], v[96:97], s[22:23], -v[150:151]
	v_fma_f64 v[150:151], v[96:97], s[22:23], v[150:151]
	v_mul_f64 v[176:177], v[140:141], s[46:47]
	v_add_f64 v[26:27], v[40:41], v[26:27]
	v_add_f64 v[130:131], v[130:131], v[134:135]
	v_fma_f64 v[134:135], v[96:97], s[24:25], -v[144:145]
	v_fma_f64 v[96:97], v[96:97], s[24:25], v[144:145]
	v_mul_f64 v[144:145], v[156:157], s[18:19]
	v_mul_f64 v[156:157], v[156:157], s[8:9]
	v_fma_f64 v[106:107], v[116:117], s[24:25], v[118:119]
	v_add_f64 v[42:43], v[42:43], v[44:45]
	v_add_f64 v[146:147], v[146:147], v[172:173]
	;; [unrolled: 1-line block ×3, first 2 shown]
	v_mul_f64 v[174:175], v[126:127], s[50:51]
	v_add_f64 v[104:105], v[164:165], v[104:105]
	v_mul_f64 v[126:127], v[126:127], s[40:41]
	v_fma_f64 v[172:173], v[108:109], s[24:25], v[178:179]
	v_fma_f64 v[118:119], v[116:117], s[24:25], -v[118:119]
	v_add_f64 v[46:47], v[110:111], v[46:47]
	v_mul_f64 v[94:95], v[154:155], s[20:21]
	v_fma_f64 v[44:45], v[98:99], s[16:17], -v[122:123]
	v_mul_f64 v[40:41], v[138:139], s[20:21]
	v_add_f64 v[48:49], v[100:101], v[48:49]
	v_fma_f64 v[100:101], v[108:109], s[22:23], v[112:113]
	v_fma_f64 v[112:113], v[108:109], s[22:23], -v[112:113]
	v_fma_f64 v[108:109], v[108:109], s[24:25], -v[178:179]
	v_mul_f64 v[178:179], v[136:137], s[18:19]
	v_add_f64 v[26:27], v[134:135], v[26:27]
	v_fma_f64 v[134:135], v[98:99], s[14:15], -v[148:149]
	v_mul_f64 v[136:137], v[136:137], s[8:9]
	v_fma_f64 v[164:165], v[124:125], s[24:25], -v[176:177]
	v_fma_f64 v[176:177], v[124:125], s[24:25], v[176:177]
	v_add_f64 v[42:43], v[96:97], v[42:43]
	v_add_f64 v[52:53], v[106:107], v[52:53]
	;; [unrolled: 1-line block ×3, first 2 shown]
	v_fma_f64 v[110:111], v[114:115], s[16:17], v[174:175]
	v_fma_f64 v[28:29], v[114:115], s[14:15], v[126:127]
	v_add_f64 v[30:31], v[172:173], v[104:105]
	v_fma_f64 v[104:105], v[98:99], s[16:17], v[122:123]
	v_add_f64 v[122:123], v[150:151], v[130:131]
	v_fma_f64 v[150:151], v[114:115], s[16:17], -v[174:175]
	v_fma_f64 v[98:99], v[98:99], s[14:15], v[148:149]
	v_fma_f64 v[96:97], v[114:115], s[14:15], -v[126:127]
	v_fma_f64 v[114:115], v[102:103], s[4:5], -v[156:157]
	v_add_f64 v[50:51], v[100:101], v[50:51]
	v_add_f64 v[112:113], v[112:113], v[146:147]
	;; [unrolled: 1-line block ×3, first 2 shown]
	v_mul_f64 v[100:101], v[152:153], s[34:35]
	v_mul_f64 v[152:153], v[152:153], s[20:21]
	v_add_f64 v[26:27], v[134:135], v[26:27]
	v_mul_f64 v[108:109], v[140:141], s[20:21]
	v_fma_f64 v[126:127], v[132:133], s[4:5], v[136:137]
	v_mul_f64 v[130:131], v[140:141], s[34:35]
	v_fma_f64 v[146:147], v[102:103], s[14:15], -v[144:145]
	v_add_f64 v[44:45], v[44:45], v[48:49]
	v_fma_f64 v[48:49], v[132:133], s[14:15], v[178:179]
	v_mul_f64 v[140:141], v[154:155], s[26:27]
	v_fma_f64 v[106:107], v[128:129], s[16:17], -v[40:41]
	v_add_f64 v[20:21], v[28:29], v[30:31]
	v_fma_f64 v[30:31], v[102:103], s[14:15], v[144:145]
	v_fma_f64 v[102:103], v[102:103], s[4:5], v[156:157]
	v_mul_f64 v[28:29], v[154:155], s[0:1]
	v_add_f64 v[42:43], v[98:99], v[42:43]
	v_fma_f64 v[98:99], v[132:133], s[4:5], -v[136:137]
	v_add_f64 v[22:23], v[110:111], v[50:51]
	v_add_f64 v[50:51], v[104:105], v[122:123]
	v_fma_f64 v[110:111], v[132:133], s[14:15], -v[178:179]
	v_add_f64 v[112:113], v[150:151], v[112:113]
	;; [unrolled: 3-line block ×3, first 2 shown]
	v_mul_f64 v[96:97], v[138:139], s[26:27]
	v_fma_f64 v[114:115], v[124:125], s[16:17], v[108:109]
	v_mul_f64 v[104:105], v[138:139], s[0:1]
	v_fma_f64 v[122:123], v[116:117], s[28:29], -v[100:101]
	v_add_f64 v[44:45], v[146:147], v[44:45]
	v_fma_f64 v[134:135], v[124:125], s[28:29], v[130:131]
	v_add_f64 v[16:17], v[126:127], v[20:21]
	v_add_f64 v[20:21], v[180:181], v[54:55]
	v_fma_f64 v[54:55], v[128:129], s[16:17], v[40:41]
	v_fma_f64 v[126:127], v[120:121], s[6:7], v[28:29]
	v_add_f64 v[42:43], v[102:103], v[42:43]
	v_fma_f64 v[102:103], v[124:125], s[16:17], -v[108:109]
	v_fma_f64 v[108:109], v[120:121], s[22:23], -v[140:141]
	v_add_f64 v[18:19], v[48:49], v[22:23]
	v_add_f64 v[48:49], v[118:119], v[78:79]
	v_fma_f64 v[78:79], v[116:117], s[28:29], v[100:101]
	v_add_f64 v[30:31], v[30:31], v[50:51]
	v_fma_f64 v[50:51], v[124:125], s[28:29], -v[130:131]
	v_add_f64 v[100:101], v[110:111], v[112:113]
	v_fma_f64 v[112:113], v[116:117], s[16:17], v[152:153]
	v_add_f64 v[46:47], v[98:99], v[46:47]
	v_add_f64 v[26:27], v[132:133], v[26:27]
	v_fma_f64 v[116:117], v[128:129], s[22:23], v[96:97]
	v_fma_f64 v[110:111], v[120:121], s[6:7], -v[28:29]
	v_add_f64 v[44:45], v[122:123], v[44:45]
	v_fma_f64 v[98:99], v[128:129], s[6:7], v[104:105]
	v_fma_f64 v[22:23], v[120:121], s[16:17], -v[94:95]
	v_fma_f64 v[94:95], v[120:121], s[16:17], v[94:95]
	v_add_f64 v[114:115], v[114:115], v[16:17]
	v_add_f64 v[122:123], v[176:177], v[20:21]
	;; [unrolled: 1-line block ×3, first 2 shown]
	v_fma_f64 v[96:97], v[128:129], s[22:23], -v[96:97]
	v_add_f64 v[28:29], v[10:11], v[6:7]
	v_add_f64 v[6:7], v[158:159], v[64:65]
	;; [unrolled: 1-line block ×5, first 2 shown]
	v_fma_f64 v[78:79], v[128:129], s[6:7], -v[104:105]
	v_add_f64 v[100:101], v[50:51], v[100:101]
	v_fma_f64 v[104:105], v[120:121], s[22:23], v[140:141]
	v_add_f64 v[112:113], v[112:113], v[42:43]
	v_add_f64 v[102:103], v[102:103], v[46:47]
	;; [unrolled: 1-line block ×10, first 2 shown]
	v_mul_u32_u24_e32 v4, 0x110, v90
	v_add_f64 v[46:47], v[142:143], v[68:69]
	v_add_f64 v[44:45], v[160:161], v[70:71]
	;; [unrolled: 1-line block ×5, first 2 shown]
	v_add3_u32 v4, 0, v4, v191
	v_add_f64 v[54:55], v[126:127], v[30:31]
	v_add_f64 v[52:53], v[78:79], v[100:101]
	;; [unrolled: 1-line block ×4, first 2 shown]
	ds_write_b128 v4, v[26:29]
	ds_write_b128 v4, v[18:21] offset:16
	ds_write_b128 v4, v[14:17] offset:32
	;; [unrolled: 1-line block ×16, first 2 shown]
.LBB0_23:
	s_or_b32 exec_lo, exec_lo, s33
	v_and_b32_e32 v4, 0xff, v90
	v_mov_b32_e32 v5, 10
	s_waitcnt lgkmcnt(0)
	s_barrier
	buffer_gl0_inv
	v_mul_lo_u16 v4, 0xf1, v4
	s_mov_b32 s0, 0xf8bb580b
	s_mov_b32 s4, 0x8764f0ba
	s_mov_b32 s1, 0xbfe14ced
	s_mov_b32 s5, 0x3feaeb8c
	v_lshrrev_b16 v12, 12, v4
	s_mov_b32 s8, 0x8eee2c13
	s_mov_b32 s14, 0xd9c712b6
	;; [unrolled: 1-line block ×4, first 2 shown]
	v_mul_lo_u16 v4, v12, 17
	v_and_b32_e32 v253, 0xffff, v12
	s_mov_b32 s18, 0x43842ef
	s_mov_b32 s20, 0x640f44db
	;; [unrolled: 1-line block ×3, first 2 shown]
	v_sub_nc_u16 v24, v90, v4
	s_mov_b32 s21, 0xbfc2375f
	s_mov_b32 s24, 0xbb3a28a1
	;; [unrolled: 1-line block ×4, first 2 shown]
	v_mul_u32_u24_sdwa v4, v24, v5 dst_sel:DWORD dst_unused:UNUSED_PAD src0_sel:BYTE_0 src1_sel:DWORD
	s_mov_b32 s27, 0xbfe4f49e
	s_mov_b32 s30, 0xfd768dbf
	;; [unrolled: 1-line block ×4, first 2 shown]
	v_lshlrev_b32_e32 v4, 4, v4
	s_mov_b32 s35, 0xbfeeb42a
	s_mov_b32 s7, 0x3fe14ced
	;; [unrolled: 1-line block ×4, first 2 shown]
	s_clause 0x9
	global_load_dwordx4 v[8:11], v4, s[12:13]
	global_load_dwordx4 v[13:16], v4, s[12:13] offset:144
	global_load_dwordx4 v[17:20], v4, s[12:13] offset:16
	;; [unrolled: 1-line block ×9, first 2 shown]
	ds_read_b128 v[4:7], v192
	ds_read_b128 v[53:56], v91 offset:1632
	ds_read_b128 v[57:60], v91 offset:3264
	;; [unrolled: 1-line block ×10, first 2 shown]
	s_mov_b32 s16, s8
	s_mov_b32 s23, 0x3fefac9e
	;; [unrolled: 1-line block ×7, first 2 shown]
	v_mov_b32_e32 v87, 4
	s_waitcnt vmcnt(0) lgkmcnt(0)
	s_barrier
	buffer_gl0_inv
	v_lshlrev_b32_sdwa v24, v87, v24 dst_sel:DWORD dst_unused:UNUSED_PAD src0_sel:DWORD src1_sel:BYTE_0
	v_mul_f64 v[21:22], v[55:56], v[10:11]
	v_mul_f64 v[10:11], v[53:54], v[10:11]
	v_mul_f64 v[85:86], v[98:99], v[15:16]
	v_mul_f64 v[102:103], v[59:60], v[19:20]
	v_mul_f64 v[15:16], v[100:101], v[15:16]
	v_mul_f64 v[19:20], v[57:58], v[19:20]
	v_mul_f64 v[104:105], v[96:97], v[27:28]
	v_mul_f64 v[27:28], v[94:95], v[27:28]
	v_mul_f64 v[106:107], v[63:64], v[31:32]
	v_mul_f64 v[31:32], v[61:62], v[31:32]
	v_mul_f64 v[108:109], v[83:84], v[35:36]
	v_mul_f64 v[35:36], v[81:82], v[35:36]
	v_mul_f64 v[110:111], v[67:68], v[39:40]
	v_mul_f64 v[39:40], v[65:66], v[39:40]
	v_mul_f64 v[112:113], v[79:80], v[43:44]
	v_mul_f64 v[43:44], v[77:78], v[43:44]
	v_mul_f64 v[114:115], v[71:72], v[47:48]
	v_mul_f64 v[47:48], v[69:70], v[47:48]
	v_mul_f64 v[116:117], v[75:76], v[51:52]
	v_mul_f64 v[51:52], v[73:74], v[51:52]
	v_fma_f64 v[21:22], v[53:54], v[8:9], v[21:22]
	v_fma_f64 v[8:9], v[55:56], v[8:9], -v[10:11]
	v_fma_f64 v[53:54], v[100:101], v[13:14], -v[85:86]
	v_fma_f64 v[10:11], v[57:58], v[17:18], v[102:103]
	v_fma_f64 v[55:56], v[98:99], v[13:14], v[15:16]
	v_fma_f64 v[13:14], v[59:60], v[17:18], -v[19:20]
	v_fma_f64 v[15:16], v[94:95], v[25:26], v[104:105]
	v_fma_f64 v[17:18], v[96:97], v[25:26], -v[27:28]
	;; [unrolled: 2-line block ×8, first 2 shown]
	v_add_f64 v[47:48], v[4:5], v[21:22]
	v_add_f64 v[49:50], v[6:7], v[8:9]
	v_add_f64 v[51:52], v[8:9], -v[53:54]
	v_add_f64 v[8:9], v[8:9], v[53:54]
	v_add_f64 v[57:58], v[21:22], v[55:56]
	v_add_f64 v[21:22], v[21:22], -v[55:56]
	;; [unrolled: 3-line block ×3, first 2 shown]
	v_add_f64 v[65:66], v[13:14], -v[17:18]
	v_add_f64 v[67:68], v[19:20], v[27:28]
	v_add_f64 v[69:70], v[25:26], v[29:30]
	v_add_f64 v[73:74], v[25:26], -v[29:30]
	v_add_f64 v[71:72], v[19:20], -v[27:28]
	v_add_f64 v[75:76], v[31:32], v[35:36]
	v_add_f64 v[77:78], v[33:34], v[37:38]
	v_add_f64 v[81:82], v[33:34], -v[37:38]
	;; [unrolled: 4-line block ×3, first 2 shown]
	v_add_f64 v[94:95], v[39:40], -v[43:44]
	v_add_f64 v[10:11], v[47:48], v[10:11]
	v_add_f64 v[12:13], v[49:50], v[13:14]
	v_mul_f64 v[47:48], v[51:52], s[0:1]
	v_mul_f64 v[49:50], v[8:9], s[4:5]
	;; [unrolled: 1-line block ×20, first 2 shown]
	v_add_f64 v[10:11], v[10:11], v[19:20]
	v_add_f64 v[12:13], v[12:13], v[25:26]
	v_fma_f64 v[19:20], v[57:58], s[4:5], v[47:48]
	v_fma_f64 v[25:26], v[21:22], s[6:7], v[49:50]
	v_fma_f64 v[47:48], v[57:58], s[4:5], -v[47:48]
	v_fma_f64 v[49:50], v[21:22], s[0:1], v[49:50]
	v_fma_f64 v[174:175], v[57:58], s[14:15], v[98:99]
	;; [unrolled: 1-line block ×3, first 2 shown]
	v_mul_f64 v[126:127], v[73:74], s[18:19]
	v_mul_f64 v[128:129], v[69:70], s[20:21]
	;; [unrolled: 1-line block ×14, first 2 shown]
	v_add_f64 v[10:11], v[10:11], v[31:32]
	v_add_f64 v[12:13], v[12:13], v[33:34]
	v_mul_f64 v[150:151], v[81:82], s[0:1]
	v_mul_f64 v[152:153], v[77:78], s[4:5]
	;; [unrolled: 1-line block ×16, first 2 shown]
	v_fma_f64 v[98:99], v[57:58], s[14:15], -v[98:99]
	v_fma_f64 v[178:179], v[57:58], s[20:21], v[102:103]
	v_fma_f64 v[180:181], v[21:22], s[22:23], v[104:105]
	v_fma_f64 v[102:103], v[57:58], s[20:21], -v[102:103]
	v_fma_f64 v[182:183], v[57:58], s[26:27], v[106:107]
	v_fma_f64 v[184:185], v[21:22], s[28:29], v[108:109]
	;; [unrolled: 1-line block ×4, first 2 shown]
	v_fma_f64 v[106:107], v[57:58], s[26:27], -v[106:107]
	v_fma_f64 v[51:52], v[57:58], s[34:35], -v[51:52]
	v_fma_f64 v[8:9], v[21:22], s[30:31], v[8:9]
	v_fma_f64 v[108:109], v[21:22], s[24:25], v[108:109]
	;; [unrolled: 1-line block ×4, first 2 shown]
	v_add_f64 v[10:11], v[10:11], v[39:40]
	v_add_f64 v[12:13], v[12:13], v[41:42]
	v_fma_f64 v[21:22], v[59:60], s[14:15], v[110:111]
	v_fma_f64 v[57:58], v[63:64], s[16:17], v[112:113]
	v_add_f64 v[19:20], v[4:5], v[19:20]
	v_add_f64 v[25:26], v[6:7], v[25:26]
	v_fma_f64 v[110:111], v[59:60], s[14:15], -v[110:111]
	v_fma_f64 v[112:113], v[63:64], s[8:9], v[112:113]
	v_fma_f64 v[193:194], v[59:60], s[26:27], v[114:115]
	;; [unrolled: 1-line block ×3, first 2 shown]
	v_add_f64 v[39:40], v[4:5], v[47:48]
	v_add_f64 v[41:42], v[6:7], v[49:50]
	;; [unrolled: 1-line block ×4, first 2 shown]
	v_fma_f64 v[114:115], v[59:60], s[26:27], -v[114:115]
	v_fma_f64 v[116:117], v[63:64], s[24:25], v[116:117]
	v_fma_f64 v[197:198], v[59:60], s[34:35], v[118:119]
	v_fma_f64 v[199:200], v[63:64], s[30:31], v[120:121]
	v_fma_f64 v[118:119], v[59:60], s[34:35], -v[118:119]
	v_fma_f64 v[120:121], v[63:64], s[36:37], v[120:121]
	v_fma_f64 v[201:202], v[59:60], s[20:21], v[122:123]
	v_fma_f64 v[203:204], v[63:64], s[18:19], v[124:125]
	;; [unrolled: 4-line block ×18, first 2 shown]
	v_fma_f64 v[83:84], v[83:84], s[20:21], -v[96:97]
	v_fma_f64 v[85:86], v[94:95], s[18:19], v[85:86]
	v_add_f64 v[94:95], v[4:5], v[98:99]
	v_add_f64 v[96:97], v[4:5], v[178:179]
	;; [unrolled: 1-line block ×104, first 2 shown]
	v_mad_u32_u24 v49, 0xbb0, v253, 0
	v_cmp_gt_u32_e64 s0, 0x55, v90
	v_add3_u32 v24, v49, v24, v191
	ds_write_b128 v24, v[25:28] offset:272
	ds_write_b128 v24, v[29:32] offset:544
	;; [unrolled: 1-line block ×10, first 2 shown]
	ds_write_b128 v24, v[45:48]
	s_waitcnt lgkmcnt(0)
	s_barrier
	buffer_gl0_inv
	ds_read_b128 v[24:27], v192
	ds_read_b128 v[28:31], v91 offset:2992
	ds_read_b128 v[32:35], v91 offset:5984
	;; [unrolled: 1-line block ×5, first 2 shown]
	s_and_saveexec_b32 s1, s0
	s_cbranch_execz .LBB0_25
; %bb.24:
	ds_read_b128 v[4:7], v91 offset:1632
	ds_read_b128 v[8:11], v91 offset:4624
	;; [unrolled: 1-line block ×6, first 2 shown]
.LBB0_25:
	s_or_b32 exec_lo, exec_lo, s1
	v_mul_u32_u24_e32 v48, 5, v90
	s_mov_b32 s4, 0xe8584caa
	s_mov_b32 s5, 0xbfebb67a
	s_mov_b32 s7, 0x3febb67a
	s_mov_b32 s6, s4
	v_lshlrev_b32_e32 v48, 4, v48
	v_add_co_u32 v48, s1, s12, v48
	v_add_co_ci_u32_e64 v49, null, s13, 0, s1
	v_add_co_u32 v64, s1, 0xaa0, v48
	v_add_co_ci_u32_e64 v65, s1, 0, v49, s1
	v_add_co_u32 v56, s1, 0x800, v48
	v_add_co_ci_u32_e64 v57, s1, 0, v49, s1
	s_clause 0x4
	global_load_dwordx4 v[48:51], v[64:65], off offset:32
	global_load_dwordx4 v[52:55], v[56:57], off offset:736
	;; [unrolled: 1-line block ×5, first 2 shown]
	s_waitcnt vmcnt(0) lgkmcnt(0)
	s_barrier
	buffer_gl0_inv
	v_mul_f64 v[68:69], v[40:41], v[50:51]
	v_mul_f64 v[70:71], v[44:45], v[54:55]
	;; [unrolled: 1-line block ×6, first 2 shown]
	v_fma_f64 v[42:43], v[42:43], v[48:49], -v[68:69]
	v_fma_f64 v[46:47], v[46:47], v[52:53], -v[70:71]
	v_mul_f64 v[68:69], v[34:35], v[62:63]
	v_mul_f64 v[62:63], v[32:33], v[62:63]
	;; [unrolled: 1-line block ×4, first 2 shown]
	v_fma_f64 v[40:41], v[40:41], v[48:49], v[50:51]
	v_fma_f64 v[44:45], v[44:45], v[52:53], v[54:55]
	v_fma_f64 v[30:31], v[30:31], v[56:57], -v[72:73]
	v_fma_f64 v[28:29], v[28:29], v[56:57], v[58:59]
	v_add_f64 v[48:49], v[42:43], v[46:47]
	v_fma_f64 v[32:33], v[32:33], v[60:61], v[68:69]
	v_fma_f64 v[34:35], v[34:35], v[60:61], -v[62:63]
	v_fma_f64 v[36:37], v[36:37], v[64:65], v[70:71]
	v_fma_f64 v[38:39], v[38:39], v[64:65], -v[66:67]
	v_add_f64 v[58:59], v[42:43], -v[46:47]
	v_add_f64 v[50:51], v[40:41], v[44:45]
	v_add_f64 v[52:53], v[40:41], -v[44:45]
	v_fma_f64 v[48:49], v[48:49], -0.5, v[30:31]
	v_add_f64 v[30:31], v[30:31], v[42:43]
	v_add_f64 v[54:55], v[32:33], v[36:37]
	;; [unrolled: 1-line block ×3, first 2 shown]
	v_add_f64 v[62:63], v[34:35], -v[38:39]
	v_fma_f64 v[50:51], v[50:51], -0.5, v[28:29]
	v_add_f64 v[34:35], v[26:27], v[34:35]
	v_add_f64 v[28:29], v[28:29], v[40:41]
	v_fma_f64 v[60:61], v[52:53], s[6:7], v[48:49]
	v_fma_f64 v[48:49], v[52:53], s[4:5], v[48:49]
	v_add_f64 v[52:53], v[24:25], v[32:33]
	v_add_f64 v[32:33], v[32:33], -v[36:37]
	v_fma_f64 v[24:25], v[54:55], -0.5, v[24:25]
	v_fma_f64 v[26:27], v[56:57], -0.5, v[26:27]
	v_fma_f64 v[40:41], v[58:59], s[4:5], v[50:51]
	v_fma_f64 v[42:43], v[58:59], s[6:7], v[50:51]
	v_add_f64 v[34:35], v[34:35], v[38:39]
	v_add_f64 v[38:39], v[28:29], v[44:45]
	;; [unrolled: 1-line block ×3, first 2 shown]
	v_mul_f64 v[50:51], v[60:61], s[4:5]
	v_mul_f64 v[56:57], v[60:61], 0.5
	v_mul_f64 v[54:55], v[48:49], s[4:5]
	v_mul_f64 v[48:49], v[48:49], -0.5
	v_add_f64 v[36:37], v[52:53], v[36:37]
	v_fma_f64 v[46:47], v[62:63], s[4:5], v[24:25]
	v_fma_f64 v[52:53], v[32:33], s[6:7], v[26:27]
	v_fma_f64 v[24:25], v[62:63], s[6:7], v[24:25]
	v_fma_f64 v[58:59], v[32:33], s[4:5], v[26:27]
	v_add_f64 v[28:29], v[34:35], v[44:45]
	v_add_f64 v[32:33], v[34:35], -v[44:45]
	v_fma_f64 v[50:51], v[40:41], 0.5, v[50:51]
	v_fma_f64 v[56:57], v[40:41], s[6:7], v[56:57]
	v_fma_f64 v[54:55], v[42:43], -0.5, v[54:55]
	v_fma_f64 v[48:49], v[42:43], s[6:7], v[48:49]
	v_add_f64 v[26:27], v[36:37], v[38:39]
	v_add_f64 v[30:31], v[36:37], -v[38:39]
	v_add_f64 v[34:35], v[46:47], v[50:51]
	v_add_f64 v[36:37], v[52:53], v[56:57]
	;; [unrolled: 1-line block ×4, first 2 shown]
	v_add_f64 v[42:43], v[46:47], -v[50:51]
	v_add_f64 v[44:45], v[52:53], -v[56:57]
	;; [unrolled: 1-line block ×4, first 2 shown]
	v_mov_b32_e32 v25, 0
	ds_write_b128 v91, v[26:29]
	ds_write_b128 v91, v[30:33] offset:8976
	ds_write_b128 v91, v[34:37] offset:2992
	;; [unrolled: 1-line block ×5, first 2 shown]
	s_and_saveexec_b32 s1, s0
	s_cbranch_execz .LBB0_27
; %bb.26:
	v_add_nc_u32_e32 v24, 0x66, v90
	v_add_nc_u32_e32 v26, 0xffffffab, v90
	v_cndmask_b32_e64 v24, v26, v24, s0
	v_mul_i32_i24_e32 v24, 5, v24
	v_lshlrev_b64 v[24:25], 4, v[24:25]
	v_add_co_u32 v24, s0, s12, v24
	v_add_co_ci_u32_e64 v25, s0, s13, v25, s0
	v_add_co_u32 v40, s0, 0xaa0, v24
	v_add_co_ci_u32_e64 v41, s0, 0, v25, s0
	;; [unrolled: 2-line block ×3, first 2 shown]
	s_clause 0x4
	global_load_dwordx4 v[24:27], v[40:41], off offset:32
	global_load_dwordx4 v[28:31], v[32:33], off offset:736
	;; [unrolled: 1-line block ×5, first 2 shown]
	s_waitcnt vmcnt(4)
	v_mul_f64 v[44:45], v[20:21], v[26:27]
	s_waitcnt vmcnt(3)
	v_mul_f64 v[46:47], v[0:1], v[30:31]
	v_mul_f64 v[26:27], v[22:23], v[26:27]
	;; [unrolled: 1-line block ×3, first 2 shown]
	s_waitcnt vmcnt(2)
	v_mul_f64 v[48:49], v[8:9], v[34:35]
	v_mul_f64 v[34:35], v[10:11], v[34:35]
	v_fma_f64 v[22:23], v[22:23], v[24:25], -v[44:45]
	v_fma_f64 v[2:3], v[2:3], v[28:29], -v[46:47]
	s_waitcnt vmcnt(1)
	v_mul_f64 v[44:45], v[12:13], v[38:39]
	s_waitcnt vmcnt(0)
	v_mul_f64 v[46:47], v[16:17], v[42:43]
	v_fma_f64 v[20:21], v[20:21], v[24:25], v[26:27]
	v_fma_f64 v[0:1], v[0:1], v[28:29], v[30:31]
	v_fma_f64 v[10:11], v[10:11], v[32:33], -v[48:49]
	v_mul_f64 v[26:27], v[14:15], v[38:39]
	v_mul_f64 v[28:29], v[18:19], v[42:43]
	v_fma_f64 v[8:9], v[8:9], v[32:33], v[34:35]
	v_add_f64 v[24:25], v[22:23], v[2:3]
	v_fma_f64 v[14:15], v[14:15], v[36:37], -v[44:45]
	v_fma_f64 v[18:19], v[18:19], v[40:41], -v[46:47]
	v_add_f64 v[30:31], v[20:21], v[0:1]
	v_add_f64 v[32:33], v[20:21], -v[0:1]
	v_fma_f64 v[12:13], v[12:13], v[36:37], v[26:27]
	v_fma_f64 v[16:17], v[16:17], v[40:41], v[28:29]
	v_add_f64 v[28:29], v[22:23], -v[2:3]
	v_fma_f64 v[24:25], v[24:25], -0.5, v[10:11]
	v_add_f64 v[38:39], v[6:7], v[14:15]
	v_add_f64 v[26:27], v[14:15], v[18:19]
	;; [unrolled: 1-line block ×3, first 2 shown]
	v_fma_f64 v[30:31], v[30:31], -0.5, v[8:9]
	v_add_f64 v[8:9], v[8:9], v[20:21]
	v_add_f64 v[14:15], v[14:15], -v[18:19]
	v_add_f64 v[36:37], v[12:13], -v[16:17]
	v_fma_f64 v[34:35], v[32:33], s[4:5], v[24:25]
	v_fma_f64 v[24:25], v[32:33], s[6:7], v[24:25]
	v_add_f64 v[32:33], v[12:13], v[16:17]
	v_add_f64 v[12:13], v[4:5], v[12:13]
	v_fma_f64 v[6:7], v[26:27], -0.5, v[6:7]
	v_fma_f64 v[20:21], v[28:29], s[6:7], v[30:31]
	v_fma_f64 v[22:23], v[28:29], s[4:5], v[30:31]
	v_add_f64 v[18:19], v[38:39], v[18:19]
	v_add_f64 v[10:11], v[10:11], v[2:3]
	;; [unrolled: 1-line block ×3, first 2 shown]
	v_mul_f64 v[26:27], v[34:35], -0.5
	v_mul_f64 v[28:29], v[24:25], 0.5
	v_fma_f64 v[4:5], v[32:33], -0.5, v[4:5]
	v_mul_f64 v[24:25], v[24:25], s[4:5]
	v_mul_f64 v[30:31], v[34:35], s[4:5]
	v_add_f64 v[12:13], v[12:13], v[16:17]
	v_fma_f64 v[16:17], v[36:37], s[4:5], v[6:7]
	v_fma_f64 v[32:33], v[36:37], s[6:7], v[6:7]
	v_add_f64 v[6:7], v[18:19], v[10:11]
	v_add_f64 v[2:3], v[18:19], -v[10:11]
	v_fma_f64 v[26:27], v[20:21], s[6:7], v[26:27]
	v_fma_f64 v[28:29], v[22:23], s[6:7], v[28:29]
	;; [unrolled: 1-line block ×3, first 2 shown]
	v_fma_f64 v[24:25], v[22:23], 0.5, v[24:25]
	v_fma_f64 v[34:35], v[14:15], s[6:7], v[4:5]
	v_fma_f64 v[30:31], v[20:21], -0.5, v[30:31]
	v_add_f64 v[4:5], v[12:13], v[8:9]
	v_add_f64 v[0:1], v[12:13], -v[8:9]
	v_add_f64 v[10:11], v[16:17], -v[26:27]
	v_add_f64 v[22:23], v[32:33], v[28:29]
	v_add_f64 v[18:19], v[16:17], v[26:27]
	;; [unrolled: 1-line block ×3, first 2 shown]
	v_add_f64 v[14:15], v[32:33], -v[28:29]
	v_add_f64 v[16:17], v[34:35], v[30:31]
	v_add_f64 v[12:13], v[36:37], -v[24:25]
	v_add_f64 v[8:9], v[34:35], -v[30:31]
	ds_write_b128 v91, v[4:7] offset:1632
	ds_write_b128 v91, v[0:3] offset:10608
	;; [unrolled: 1-line block ×6, first 2 shown]
.LBB0_27:
	s_or_b32 exec_lo, exec_lo, s1
	s_waitcnt lgkmcnt(0)
	s_barrier
	buffer_gl0_inv
	s_and_saveexec_b32 s0, vcc_lo
	s_cbranch_execz .LBB0_29
; %bb.28:
	v_mul_lo_u32 v2, s3, v92
	v_mul_lo_u32 v3, s2, v93
	v_mad_u64_u32 v[0:1], null, s2, v92, 0
	v_lshl_add_u32 v28, v90, 4, v190
	v_mov_b32_e32 v91, 0
	v_lshlrev_b64 v[8:9], 4, v[88:89]
	v_add_nc_u32_e32 v12, 0x66, v90
	v_add_nc_u32_e32 v22, 0x1fe, v90
	;; [unrolled: 1-line block ×3, first 2 shown]
	v_add3_u32 v1, v1, v3, v2
	v_mov_b32_e32 v13, v91
	v_lshlrev_b64 v[14:15], 4, v[90:91]
	v_mov_b32_e32 v23, v91
	v_mov_b32_e32 v25, v91
	v_lshlrev_b64 v[10:11], 4, v[0:1]
	ds_read_b128 v[0:3], v28
	ds_read_b128 v[4:7], v28 offset:1632
	v_lshlrev_b64 v[22:23], 4, v[22:23]
	v_add_co_u32 v10, vcc_lo, s10, v10
	v_add_co_ci_u32_e32 v11, vcc_lo, s11, v11, vcc_lo
	v_add_co_u32 v30, vcc_lo, v10, v8
	v_add_co_ci_u32_e32 v31, vcc_lo, v11, v9, vcc_lo
	v_lshlrev_b64 v[8:9], 4, v[12:13]
	v_add_co_u32 v10, vcc_lo, v30, v14
	v_add_co_ci_u32_e32 v11, vcc_lo, v31, v15, vcc_lo
	v_add_nc_u32_e32 v12, 0xcc, v90
	v_add_co_u32 v8, vcc_lo, v30, v8
	v_add_co_ci_u32_e32 v9, vcc_lo, v31, v9, vcc_lo
	s_waitcnt lgkmcnt(1)
	global_store_dwordx4 v[10:11], v[0:3], off
	s_waitcnt lgkmcnt(0)
	global_store_dwordx4 v[8:9], v[4:7], off
	v_lshlrev_b64 v[0:1], 4, v[12:13]
	v_add_nc_u32_e32 v8, 0x132, v90
	v_mov_b32_e32 v9, v91
	v_add_nc_u32_e32 v10, 0x198, v90
	v_mov_b32_e32 v11, v91
	v_add_co_u32 v16, vcc_lo, v30, v0
	v_add_co_ci_u32_e32 v17, vcc_lo, v31, v1, vcc_lo
	ds_read_b128 v[0:3], v28 offset:3264
	ds_read_b128 v[4:7], v28 offset:4896
	v_lshlrev_b64 v[18:19], 4, v[8:9]
	v_lshlrev_b64 v[20:21], 4, v[10:11]
	ds_read_b128 v[8:11], v28 offset:6528
	ds_read_b128 v[12:15], v28 offset:8160
	v_add_co_u32 v18, vcc_lo, v30, v18
	v_add_co_ci_u32_e32 v19, vcc_lo, v31, v19, vcc_lo
	v_add_co_u32 v20, vcc_lo, v30, v20
	v_add_co_ci_u32_e32 v21, vcc_lo, v31, v21, vcc_lo
	v_add_co_u32 v22, vcc_lo, v30, v22
	s_waitcnt lgkmcnt(3)
	global_store_dwordx4 v[16:17], v[0:3], off
	s_waitcnt lgkmcnt(2)
	global_store_dwordx4 v[18:19], v[4:7], off
	v_add_nc_u32_e32 v2, 0x2ca, v90
	v_mov_b32_e32 v3, v91
	v_add_co_ci_u32_e32 v23, vcc_lo, v31, v23, vcc_lo
	v_lshlrev_b64 v[0:1], 4, v[24:25]
	s_waitcnt lgkmcnt(1)
	global_store_dwordx4 v[20:21], v[8:11], off
	s_waitcnt lgkmcnt(0)
	global_store_dwordx4 v[22:23], v[12:15], off
	v_lshlrev_b64 v[8:9], 4, v[2:3]
	v_add_nc_u32_e32 v10, 0x330, v90
	v_mov_b32_e32 v11, v91
	v_add_co_u32 v20, vcc_lo, v30, v0
	v_add_co_ci_u32_e32 v21, vcc_lo, v31, v1, vcc_lo
	v_add_co_u32 v22, vcc_lo, v30, v8
	ds_read_b128 v[0:3], v28 offset:9792
	ds_read_b128 v[4:7], v28 offset:11424
	v_add_co_ci_u32_e32 v23, vcc_lo, v31, v9, vcc_lo
	v_lshlrev_b64 v[26:27], 4, v[10:11]
	ds_read_b128 v[8:11], v28 offset:13056
	ds_read_b128 v[12:15], v28 offset:14688
	;; [unrolled: 1-line block ×3, first 2 shown]
	v_add_nc_u32_e32 v24, 0x396, v90
	v_add_nc_u32_e32 v90, 0x3fc, v90
	v_add_co_u32 v26, vcc_lo, v30, v26
	v_lshlrev_b64 v[24:25], 4, v[24:25]
	v_lshlrev_b64 v[28:29], 4, v[90:91]
	v_add_co_ci_u32_e32 v27, vcc_lo, v31, v27, vcc_lo
	v_add_co_u32 v24, vcc_lo, v30, v24
	v_add_co_ci_u32_e32 v25, vcc_lo, v31, v25, vcc_lo
	v_add_co_u32 v28, vcc_lo, v30, v28
	v_add_co_ci_u32_e32 v29, vcc_lo, v31, v29, vcc_lo
	s_waitcnt lgkmcnt(4)
	global_store_dwordx4 v[20:21], v[0:3], off
	s_waitcnt lgkmcnt(3)
	global_store_dwordx4 v[22:23], v[4:7], off
	;; [unrolled: 2-line block ×5, first 2 shown]
.LBB0_29:
	s_endpgm
	.section	.rodata,"a",@progbits
	.p2align	6, 0x0
	.amdhsa_kernel fft_rtc_back_len1122_factors_17_11_6_wgs_204_tpt_102_halfLds_dp_op_CI_CI_unitstride_sbrr_C2R_dirReg
		.amdhsa_group_segment_fixed_size 0
		.amdhsa_private_segment_fixed_size 0
		.amdhsa_kernarg_size 104
		.amdhsa_user_sgpr_count 6
		.amdhsa_user_sgpr_private_segment_buffer 1
		.amdhsa_user_sgpr_dispatch_ptr 0
		.amdhsa_user_sgpr_queue_ptr 0
		.amdhsa_user_sgpr_kernarg_segment_ptr 1
		.amdhsa_user_sgpr_dispatch_id 0
		.amdhsa_user_sgpr_flat_scratch_init 0
		.amdhsa_user_sgpr_private_segment_size 0
		.amdhsa_wavefront_size32 1
		.amdhsa_uses_dynamic_stack 0
		.amdhsa_system_sgpr_private_segment_wavefront_offset 0
		.amdhsa_system_sgpr_workgroup_id_x 1
		.amdhsa_system_sgpr_workgroup_id_y 0
		.amdhsa_system_sgpr_workgroup_id_z 0
		.amdhsa_system_sgpr_workgroup_info 0
		.amdhsa_system_vgpr_workitem_id 0
		.amdhsa_next_free_vgpr 254
		.amdhsa_next_free_sgpr 54
		.amdhsa_reserve_vcc 1
		.amdhsa_reserve_flat_scratch 0
		.amdhsa_float_round_mode_32 0
		.amdhsa_float_round_mode_16_64 0
		.amdhsa_float_denorm_mode_32 3
		.amdhsa_float_denorm_mode_16_64 3
		.amdhsa_dx10_clamp 1
		.amdhsa_ieee_mode 1
		.amdhsa_fp16_overflow 0
		.amdhsa_workgroup_processor_mode 1
		.amdhsa_memory_ordered 1
		.amdhsa_forward_progress 0
		.amdhsa_shared_vgpr_count 0
		.amdhsa_exception_fp_ieee_invalid_op 0
		.amdhsa_exception_fp_denorm_src 0
		.amdhsa_exception_fp_ieee_div_zero 0
		.amdhsa_exception_fp_ieee_overflow 0
		.amdhsa_exception_fp_ieee_underflow 0
		.amdhsa_exception_fp_ieee_inexact 0
		.amdhsa_exception_int_div_zero 0
	.end_amdhsa_kernel
	.text
.Lfunc_end0:
	.size	fft_rtc_back_len1122_factors_17_11_6_wgs_204_tpt_102_halfLds_dp_op_CI_CI_unitstride_sbrr_C2R_dirReg, .Lfunc_end0-fft_rtc_back_len1122_factors_17_11_6_wgs_204_tpt_102_halfLds_dp_op_CI_CI_unitstride_sbrr_C2R_dirReg
                                        ; -- End function
	.section	.AMDGPU.csdata,"",@progbits
; Kernel info:
; codeLenInByte = 15016
; NumSgprs: 56
; NumVgprs: 254
; ScratchSize: 0
; MemoryBound: 0
; FloatMode: 240
; IeeeMode: 1
; LDSByteSize: 0 bytes/workgroup (compile time only)
; SGPRBlocks: 6
; VGPRBlocks: 31
; NumSGPRsForWavesPerEU: 56
; NumVGPRsForWavesPerEU: 254
; Occupancy: 4
; WaveLimiterHint : 1
; COMPUTE_PGM_RSRC2:SCRATCH_EN: 0
; COMPUTE_PGM_RSRC2:USER_SGPR: 6
; COMPUTE_PGM_RSRC2:TRAP_HANDLER: 0
; COMPUTE_PGM_RSRC2:TGID_X_EN: 1
; COMPUTE_PGM_RSRC2:TGID_Y_EN: 0
; COMPUTE_PGM_RSRC2:TGID_Z_EN: 0
; COMPUTE_PGM_RSRC2:TIDIG_COMP_CNT: 0
	.text
	.p2alignl 6, 3214868480
	.fill 48, 4, 3214868480
	.type	__hip_cuid_56d51e0a1eae28e4,@object ; @__hip_cuid_56d51e0a1eae28e4
	.section	.bss,"aw",@nobits
	.globl	__hip_cuid_56d51e0a1eae28e4
__hip_cuid_56d51e0a1eae28e4:
	.byte	0                               ; 0x0
	.size	__hip_cuid_56d51e0a1eae28e4, 1

	.ident	"AMD clang version 19.0.0git (https://github.com/RadeonOpenCompute/llvm-project roc-6.4.0 25133 c7fe45cf4b819c5991fe208aaa96edf142730f1d)"
	.section	".note.GNU-stack","",@progbits
	.addrsig
	.addrsig_sym __hip_cuid_56d51e0a1eae28e4
	.amdgpu_metadata
---
amdhsa.kernels:
  - .args:
      - .actual_access:  read_only
        .address_space:  global
        .offset:         0
        .size:           8
        .value_kind:     global_buffer
      - .offset:         8
        .size:           8
        .value_kind:     by_value
      - .actual_access:  read_only
        .address_space:  global
        .offset:         16
        .size:           8
        .value_kind:     global_buffer
      - .actual_access:  read_only
        .address_space:  global
        .offset:         24
        .size:           8
        .value_kind:     global_buffer
      - .actual_access:  read_only
        .address_space:  global
        .offset:         32
        .size:           8
        .value_kind:     global_buffer
      - .offset:         40
        .size:           8
        .value_kind:     by_value
      - .actual_access:  read_only
        .address_space:  global
        .offset:         48
        .size:           8
        .value_kind:     global_buffer
      - .actual_access:  read_only
        .address_space:  global
        .offset:         56
        .size:           8
        .value_kind:     global_buffer
      - .offset:         64
        .size:           4
        .value_kind:     by_value
      - .actual_access:  read_only
        .address_space:  global
        .offset:         72
        .size:           8
        .value_kind:     global_buffer
      - .actual_access:  read_only
        .address_space:  global
        .offset:         80
        .size:           8
        .value_kind:     global_buffer
      - .actual_access:  read_only
        .address_space:  global
        .offset:         88
        .size:           8
        .value_kind:     global_buffer
      - .actual_access:  write_only
        .address_space:  global
        .offset:         96
        .size:           8
        .value_kind:     global_buffer
    .group_segment_fixed_size: 0
    .kernarg_segment_align: 8
    .kernarg_segment_size: 104
    .language:       OpenCL C
    .language_version:
      - 2
      - 0
    .max_flat_workgroup_size: 204
    .name:           fft_rtc_back_len1122_factors_17_11_6_wgs_204_tpt_102_halfLds_dp_op_CI_CI_unitstride_sbrr_C2R_dirReg
    .private_segment_fixed_size: 0
    .sgpr_count:     56
    .sgpr_spill_count: 0
    .symbol:         fft_rtc_back_len1122_factors_17_11_6_wgs_204_tpt_102_halfLds_dp_op_CI_CI_unitstride_sbrr_C2R_dirReg.kd
    .uniform_work_group_size: 1
    .uses_dynamic_stack: false
    .vgpr_count:     254
    .vgpr_spill_count: 0
    .wavefront_size: 32
    .workgroup_processor_mode: 1
amdhsa.target:   amdgcn-amd-amdhsa--gfx1030
amdhsa.version:
  - 1
  - 2
...

	.end_amdgpu_metadata
